;; amdgpu-corpus repo=ROCm/rocFFT kind=compiled arch=gfx1100 opt=O3
	.text
	.amdgcn_target "amdgcn-amd-amdhsa--gfx1100"
	.amdhsa_code_object_version 6
	.protected	bluestein_single_fwd_len3125_dim1_dp_op_CI_CI ; -- Begin function bluestein_single_fwd_len3125_dim1_dp_op_CI_CI
	.globl	bluestein_single_fwd_len3125_dim1_dp_op_CI_CI
	.p2align	8
	.type	bluestein_single_fwd_len3125_dim1_dp_op_CI_CI,@function
bluestein_single_fwd_len3125_dim1_dp_op_CI_CI: ; @bluestein_single_fwd_len3125_dim1_dp_op_CI_CI
; %bb.0:
	s_load_b128 s[16:19], s[0:1], 0x28
	v_mul_u32_u24_e32 v1, 0x20d, v0
	s_mov_b32 s2, exec_lo
	v_mov_b32_e32 v3, 0
	s_delay_alu instid0(VALU_DEP_2) | instskip(NEXT) | instid1(VALU_DEP_1)
	v_lshrrev_b32_e32 v1, 16, v1
	v_add_nc_u32_e32 v2, s15, v1
	s_waitcnt lgkmcnt(0)
	s_delay_alu instid0(VALU_DEP_1)
	v_cmpx_gt_u64_e64 s[16:17], v[2:3]
	s_cbranch_execz .LBB0_2
; %bb.1:
	s_clause 0x1
	s_load_b128 s[4:7], s[0:1], 0x18
	s_load_b128 s[8:11], s[0:1], 0x0
	v_mul_lo_u16 v1, 0x7d, v1
	s_mov_b32 s17, 0xbfee6f0e
	v_mov_b32_e32 v7, v2
	s_delay_alu instid0(VALU_DEP_2) | instskip(SKIP_3) | instid1(VALU_DEP_1)
	v_sub_nc_u16 v10, v0, v1
	scratch_store_b64 off, v[7:8], off      ; 8-byte Folded Spill
	v_and_b32_e32 v6, 0xffff, v10
	v_mul_lo_u16 v9, v10, 5
	v_and_b32_e32 v9, 0xffff, v9
	s_waitcnt lgkmcnt(0)
	s_load_b128 s[12:15], s[4:5], 0x0
	s_delay_alu instid0(VALU_DEP_1)
	v_lshlrev_b32_e32 v9, 4, v9
	s_waitcnt lgkmcnt(0)
	v_mad_u64_u32 v[0:1], null, s14, v2, 0
	v_mad_u64_u32 v[2:3], null, s12, v6, 0
	s_mul_hi_u32 s4, s12, 0x2710
	s_mul_i32 s3, s12, 0x2710
	s_mul_i32 s5, s13, 0xffff6b90
	s_delay_alu instid0(VALU_DEP_1) | instskip(SKIP_4) | instid1(VALU_DEP_1)
	v_mad_u64_u32 v[4:5], null, s15, v7, v[1:2]
	v_mov_b32_e32 v1, v6
	s_mov_b32 s14, 0x134454ff
	s_mov_b32 s15, 0x3fee6f0e
	;; [unrolled: 1-line block ×3, first 2 shown]
	v_lshlrev_b32_e32 v8, 4, v1
	global_load_b128 v[57:60], v8, s[8:9]
	s_waitcnt vmcnt(0)
	v_dual_mov_b32 v108, v60 :: v_dual_mov_b32 v223, v1
	v_mad_u64_u32 v[5:6], null, s13, v1, v[3:4]
	v_dual_mov_b32 v1, v4 :: v_dual_mov_b32 v106, v58
	v_add_co_u32 v136, s2, s8, v8
	s_delay_alu instid0(VALU_DEP_1) | instskip(NEXT) | instid1(VALU_DEP_4)
	v_add_co_ci_u32_e64 v180, null, s9, 0, s2
	v_mov_b32_e32 v3, v5
	s_delay_alu instid0(VALU_DEP_4) | instskip(NEXT) | instid1(VALU_DEP_4)
	v_lshlrev_b64 v[0:1], 4, v[0:1]
	v_add_co_u32 v31, vcc_lo, 0x2000, v136
	s_delay_alu instid0(VALU_DEP_4) | instskip(NEXT) | instid1(VALU_DEP_4)
	v_add_co_ci_u32_e32 v32, vcc_lo, 0, v180, vcc_lo
	v_lshlrev_b64 v[2:3], 4, v[2:3]
	s_delay_alu instid0(VALU_DEP_4) | instskip(SKIP_2) | instid1(VALU_DEP_2)
	v_add_co_u32 v0, vcc_lo, s18, v0
	v_add_co_ci_u32_e32 v1, vcc_lo, s19, v1, vcc_lo
	s_mul_i32 s2, s13, 0x2710
	v_add_co_u32 v0, vcc_lo, v0, v2
	s_delay_alu instid0(VALU_DEP_2) | instskip(SKIP_1) | instid1(VALU_DEP_2)
	v_add_co_ci_u32_e32 v1, vcc_lo, v1, v3, vcc_lo
	s_add_i32 s4, s4, s2
	v_add_co_u32 v2, vcc_lo, v0, s3
	s_delay_alu instid0(VALU_DEP_2)
	v_add_co_ci_u32_e32 v3, vcc_lo, s4, v1, vcc_lo
	global_load_b128 v[4:7], v[0:1], off
	global_load_b128 v[65:68], v[31:32], off offset:1808
	global_load_b128 v[11:14], v[2:3], off
	v_add_co_u32 v0, vcc_lo, 0x4000, v136
	v_add_co_u32 v39, s2, 0x7000, v136
	v_add_co_ci_u32_e32 v1, vcc_lo, 0, v180, vcc_lo
	v_add_co_ci_u32_e64 v40, vcc_lo, 0, v180, s2
	v_add_co_u32 v2, vcc_lo, v2, s3
	v_add_co_ci_u32_e32 v3, vcc_lo, s4, v3, vcc_lo
	global_load_b128 v[77:80], v[0:1], off offset:3616
	v_add_co_u32 v23, vcc_lo, v2, s3
	v_add_co_ci_u32_e32 v24, vcc_lo, s4, v3, vcc_lo
	global_load_b128 v[15:18], v[2:3], off
	global_load_b128 v[81:84], v[39:40], off offset:1328
	global_load_b128 v[19:22], v[23:24], off
	v_add_co_u32 v2, vcc_lo, 0x9000, v136
	v_add_co_ci_u32_e32 v3, vcc_lo, 0, v180, vcc_lo
	v_add_co_u32 v23, vcc_lo, v23, s3
	s_mul_hi_u32 s13, s12, 0xffff6b90
	v_add_co_ci_u32_e32 v24, vcc_lo, s4, v24, vcc_lo
	s_mul_i32 s2, s12, 0xffff6b90
	s_sub_i32 s12, s13, s12
	v_add_co_u32 v33, vcc_lo, v23, s2
	s_add_i32 s5, s12, s5
	global_load_b128 v[89:92], v[2:3], off offset:3136
	v_add_co_ci_u32_e32 v34, vcc_lo, s5, v24, vcc_lo
	global_load_b128 v[23:26], v[23:24], off
	global_load_b128 v[93:96], v8, s[8:9] offset:2000
	global_load_b128 v[27:30], v[33:34], off
	v_add_co_u32 v55, vcc_lo, 0x5000, v136
	v_add_co_ci_u32_e32 v56, vcc_lo, 0, v180, vcc_lo
	v_add_co_u32 v33, vcc_lo, v33, s3
	v_add_co_ci_u32_e32 v34, vcc_lo, s4, v34, vcc_lo
	global_load_b128 v[69:72], v[31:32], off offset:3808
	v_add_co_u32 v41, vcc_lo, v33, s3
	v_add_co_ci_u32_e32 v42, vcc_lo, s4, v34, vcc_lo
	global_load_b128 v[31:34], v[33:34], off
	global_load_b128 v[73:76], v[55:56], off offset:1520
	global_load_b128 v[35:38], v[41:42], off
	v_add_co_u32 v63, vcc_lo, 0xa000, v136
	v_add_co_ci_u32_e32 v64, vcc_lo, 0, v180, vcc_lo
	v_add_co_u32 v41, vcc_lo, v41, s3
	v_add_co_ci_u32_e32 v42, vcc_lo, s4, v42, vcc_lo
	global_load_b128 v[85:88], v[39:40], off offset:3328
	v_add_co_u32 v47, vcc_lo, v41, s3
	v_add_co_ci_u32_e32 v48, vcc_lo, s4, v42, vcc_lo
	global_load_b128 v[39:42], v[41:42], off
	global_load_b128 v[97:100], v[63:64], off offset:1040
	global_load_b128 v[43:46], v[47:48], off
	v_mov_b32_e32 v107, v59
	v_mov_b32_e32 v105, v57
	s_mov_b32 s12, 0x372fe950
	s_mov_b32 s13, 0x3fd3c6ef
	s_waitcnt vmcnt(18)
	v_mul_f64 v[49:50], v[6:7], v[59:60]
	s_waitcnt vmcnt(17)
	v_mov_b32_e32 v104, v68
	s_waitcnt vmcnt(16)
	v_mul_f64 v[53:54], v[13:14], v[67:68]
	v_mul_f64 v[57:58], v[11:12], v[67:68]
	v_dual_mov_b32 v103, v67 :: v_dual_mov_b32 v102, v66
	v_mov_b32_e32 v101, v65
	v_mul_f64 v[51:52], v[4:5], v[59:60]
	s_waitcnt vmcnt(15)
	v_mov_b32_e32 v65, v77
	v_dual_mov_b32 v67, v79 :: v_dual_mov_b32 v68, v80
	v_mov_b32_e32 v66, v78
	scratch_store_b128 off, v[105:108], off offset:392 ; 16-byte Folded Spill
	s_waitcnt vmcnt(13)
	scratch_store_b128 off, v[81:84], off offset:312 ; 16-byte Folded Spill
	v_mul_f64 v[59:60], v[17:18], v[67:68]
	scratch_store_b128 off, v[65:68], off offset:296 ; 16-byte Folded Spill
	s_waitcnt vmcnt(11)
	scratch_store_b128 off, v[89:92], off offset:328 ; 16-byte Folded Spill
	v_fma_f64 v[4:5], v[4:5], v[105:106], v[49:50]
	v_mul_f64 v[49:50], v[15:16], v[67:68]
	s_waitcnt vmcnt(9)
	scratch_store_b128 off, v[93:96], off offset:360 ; 16-byte Folded Spill
	v_fma_f64 v[6:7], v[6:7], v[105:106], -v[51:52]
	v_mul_f64 v[51:52], v[21:22], v[83:84]
	s_waitcnt vmcnt(7)
	scratch_store_b128 off, v[69:72], off offset:344 ; 16-byte Folded Spill
	v_fma_f64 v[15:16], v[15:16], v[65:66], v[59:60]
	v_mul_f64 v[59:60], v[29:30], v[95:96]
	v_fma_f64 v[17:18], v[17:18], v[65:66], -v[49:50]
	v_mul_f64 v[49:50], v[23:24], v[91:92]
	s_waitcnt vmcnt(5)
	v_dual_mov_b32 v65, v73 :: v_dual_mov_b32 v66, v74
	v_fma_f64 v[13:14], v[13:14], v[101:102], -v[57:58]
	v_mul_f64 v[57:58], v[25:26], v[91:92]
	v_fma_f64 v[11:12], v[11:12], v[101:102], v[53:54]
	v_mul_f64 v[53:54], v[19:20], v[83:84]
	v_dual_mov_b32 v67, v75 :: v_dual_mov_b32 v68, v76
	v_fma_f64 v[19:20], v[19:20], v[81:82], v[51:52]
	v_mul_f64 v[51:52], v[27:28], v[95:96]
	scratch_store_b128 off, v[101:104], off offset:376 ; 16-byte Folded Spill
	v_fma_f64 v[27:28], v[27:28], v[93:94], v[59:60]
	s_waitcnt vmcnt(2)
	v_mul_f64 v[59:60], v[41:42], v[87:88]
	v_fma_f64 v[25:26], v[25:26], v[89:90], -v[49:50]
	v_mul_f64 v[49:50], v[31:32], v[71:72]
	v_fma_f64 v[23:24], v[23:24], v[89:90], v[57:58]
	v_mul_f64 v[57:58], v[37:38], v[67:68]
	v_fma_f64 v[21:22], v[21:22], v[81:82], -v[53:54]
	v_mul_f64 v[53:54], v[33:34], v[71:72]
	v_fma_f64 v[29:30], v[29:30], v[93:94], -v[51:52]
	;; [unrolled: 2-line block ×3, first 2 shown]
	v_mul_f64 v[49:50], v[39:40], v[87:88]
	v_fma_f64 v[39:40], v[39:40], v[85:86], v[59:60]
	global_load_b128 v[59:62], v8, s[8:9] offset:4000
	v_fma_f64 v[35:36], v[35:36], v[65:66], v[57:58]
	v_add_co_u32 v57, vcc_lo, v47, s2
	v_add_co_ci_u32_e32 v58, vcc_lo, s5, v48, vcc_lo
	v_fma_f64 v[31:32], v[31:32], v[69:70], v[53:54]
	s_waitcnt vmcnt(1)
	v_mul_f64 v[53:54], v[45:46], v[99:100]
	v_fma_f64 v[37:38], v[37:38], v[65:66], -v[51:52]
	v_mul_f64 v[51:52], v[43:44], v[99:100]
	v_add_co_u32 v71, vcc_lo, 0x3000, v136
	v_add_co_ci_u32_e32 v72, vcc_lo, 0, v180, vcc_lo
	scratch_store_b128 off, v[65:68], off offset:232 ; 16-byte Folded Spill
	s_mov_b32 s9, 0xbfe2cf23
	global_load_b128 v[65:68], v[71:72], off offset:1712
	scratch_store_b128 off, v[97:100], off offset:264 ; 16-byte Folded Spill
	v_fma_f64 v[41:42], v[41:42], v[85:86], -v[49:50]
	global_load_b128 v[47:50], v[57:58], off
	v_add_co_u32 v57, vcc_lo, v57, s3
	v_add_co_ci_u32_e32 v58, vcc_lo, s4, v58, vcc_lo
	v_fma_f64 v[43:44], v[43:44], v[97:98], v[53:54]
	v_fma_f64 v[45:46], v[45:46], v[97:98], -v[51:52]
	s_waitcnt vmcnt(2)
	scratch_store_b128 off, v[59:62], off offset:280 ; 16-byte Folded Spill
	s_waitcnt vmcnt(1)
	scratch_store_b128 off, v[65:68], off offset:216 ; 16-byte Folded Spill
	s_waitcnt vmcnt(0)
	v_mul_f64 v[51:52], v[49:50], v[61:62]
	v_mul_f64 v[53:54], v[47:48], v[61:62]
	s_delay_alu instid0(VALU_DEP_2) | instskip(NEXT) | instid1(VALU_DEP_2)
	v_fma_f64 v[47:48], v[47:48], v[59:60], v[51:52]
	v_fma_f64 v[49:50], v[49:50], v[59:60], -v[53:54]
	global_load_b128 v[51:54], v[57:58], off
	s_waitcnt vmcnt(0)
	v_mul_f64 v[59:60], v[53:54], v[67:68]
	v_mul_f64 v[61:62], v[51:52], v[67:68]
	global_load_b128 v[67:70], v[55:56], off offset:3520
	v_fma_f64 v[51:52], v[51:52], v[65:66], v[59:60]
	v_add_co_u32 v59, vcc_lo, v57, s3
	v_add_co_ci_u32_e32 v60, vcc_lo, s4, v58, vcc_lo
	v_fma_f64 v[53:54], v[53:54], v[65:66], -v[61:62]
	global_load_b128 v[55:58], v[59:60], off
	s_waitcnt vmcnt(0)
	v_mul_f64 v[65:66], v[55:56], v[69:70]
	v_mul_f64 v[61:62], v[57:58], v[69:70]
	s_delay_alu instid0(VALU_DEP_2)
	v_fma_f64 v[57:58], v[57:58], v[67:68], -v[65:66]
	v_add_co_u32 v65, vcc_lo, v59, s3
	v_add_co_ci_u32_e32 v66, vcc_lo, s4, v60, vcc_lo
	v_add_co_u32 v79, vcc_lo, 0x8000, v136
	v_add_co_ci_u32_e32 v80, vcc_lo, 0, v180, vcc_lo
	v_fma_f64 v[55:56], v[55:56], v[67:68], v[61:62]
	global_load_b128 v[59:62], v[65:66], off
	global_load_b128 v[73:76], v[79:80], off offset:1232
	scratch_store_b128 off, v[67:70], off offset:200 ; 16-byte Folded Spill
	s_waitcnt vmcnt(0)
	scratch_store_b128 off, v[73:76], off offset:184 ; 16-byte Folded Spill
	v_mul_f64 v[67:68], v[61:62], v[75:76]
	v_mul_f64 v[69:70], v[59:60], v[75:76]
	global_load_b128 v[75:78], v[63:64], off offset:3040
	scratch_store_b128 off, v[85:88], off offset:248 ; 16-byte Folded Spill
	v_fma_f64 v[59:60], v[59:60], v[73:74], v[67:68]
	v_add_co_u32 v67, vcc_lo, v65, s3
	v_add_co_ci_u32_e32 v68, vcc_lo, s4, v66, vcc_lo
	v_fma_f64 v[61:62], v[61:62], v[73:74], -v[69:70]
	global_load_b128 v[63:66], v[67:68], off
	s_waitcnt vmcnt(1)
	scratch_store_b128 off, v[75:78], off offset:136 ; 16-byte Folded Spill
	s_waitcnt vmcnt(0)
	v_mul_f64 v[73:74], v[63:64], v[77:78]
	v_mul_f64 v[69:70], v[65:66], v[77:78]
	s_delay_alu instid0(VALU_DEP_2)
	v_fma_f64 v[65:66], v[65:66], v[75:76], -v[73:74]
	v_add_co_u32 v73, vcc_lo, v67, s2
	v_add_co_ci_u32_e32 v74, vcc_lo, s5, v68, vcc_lo
	v_add_co_u32 v87, vcc_lo, 0x1000, v136
	v_add_co_ci_u32_e32 v88, vcc_lo, 0, v180, vcc_lo
	v_fma_f64 v[63:64], v[63:64], v[75:76], v[69:70]
	global_load_b128 v[81:84], v[87:88], off offset:1904
	global_load_b128 v[67:70], v[73:74], off
	s_waitcnt vmcnt(1)
	scratch_store_b128 off, v[81:84], off offset:168 ; 16-byte Folded Spill
	s_waitcnt vmcnt(0)
	v_mul_f64 v[75:76], v[69:70], v[83:84]
	v_mul_f64 v[77:78], v[67:68], v[83:84]
	global_load_b128 v[83:86], v[71:72], off offset:3712
	v_fma_f64 v[67:68], v[67:68], v[81:82], v[75:76]
	v_add_co_u32 v75, vcc_lo, v73, s3
	v_add_co_ci_u32_e32 v76, vcc_lo, s4, v74, vcc_lo
	v_fma_f64 v[69:70], v[69:70], v[81:82], -v[77:78]
	global_load_b128 v[71:74], v[75:76], off
	s_waitcnt vmcnt(0)
	v_mul_f64 v[81:82], v[71:72], v[85:86]
	v_mul_f64 v[77:78], v[73:74], v[85:86]
	s_delay_alu instid0(VALU_DEP_2)
	v_fma_f64 v[73:74], v[73:74], v[83:84], -v[81:82]
	v_add_co_u32 v81, vcc_lo, v75, s3
	v_add_co_ci_u32_e32 v82, vcc_lo, s4, v76, vcc_lo
	v_add_co_u32 v95, vcc_lo, 0x6000, v136
	v_add_co_ci_u32_e32 v96, vcc_lo, 0, v180, vcc_lo
	v_fma_f64 v[71:72], v[71:72], v[83:84], v[77:78]
	global_load_b128 v[75:78], v[81:82], off
	global_load_b128 v[89:92], v[95:96], off offset:1424
	scratch_store_b128 off, v[83:86], off offset:152 ; 16-byte Folded Spill
	s_waitcnt vmcnt(0)
	scratch_store_b128 off, v[89:92], off offset:104 ; 16-byte Folded Spill
	v_mul_f64 v[83:84], v[77:78], v[91:92]
	v_mul_f64 v[85:86], v[75:76], v[91:92]
	global_load_b128 v[91:94], v[79:80], off offset:3232
	v_fma_f64 v[75:76], v[75:76], v[89:90], v[83:84]
	v_add_co_u32 v83, vcc_lo, v81, s3
	v_add_co_ci_u32_e32 v84, vcc_lo, s4, v82, vcc_lo
	v_fma_f64 v[77:78], v[77:78], v[89:90], -v[85:86]
	global_load_b128 v[79:82], v[83:84], off
	s_waitcnt vmcnt(0)
	v_mul_f64 v[89:90], v[79:80], v[93:94]
	v_mul_f64 v[85:86], v[81:82], v[93:94]
	s_delay_alu instid0(VALU_DEP_2)
	v_fma_f64 v[81:82], v[81:82], v[91:92], -v[89:90]
	v_add_co_u32 v89, vcc_lo, v83, s3
	v_add_co_ci_u32_e32 v90, vcc_lo, s4, v84, vcc_lo
	v_add_co_u32 v99, vcc_lo, 0xb000, v136
	v_add_co_ci_u32_e32 v100, vcc_lo, 0, v180, vcc_lo
	v_fma_f64 v[79:80], v[79:80], v[91:92], v[85:86]
	global_load_b128 v[83:86], v[89:90], off
	global_load_b128 v[101:104], v[99:100], off offset:944
	scratch_store_b128 off, v[91:94], off offset:120 ; 16-byte Folded Spill
	s_waitcnt vmcnt(0)
	scratch_store_b128 off, v[101:104], off offset:8 ; 16-byte Folded Spill
	v_mul_f64 v[91:92], v[85:86], v[103:104]
	v_mul_f64 v[93:94], v[83:84], v[103:104]
	s_delay_alu instid0(VALU_DEP_2) | instskip(SKIP_2) | instid1(VALU_DEP_4)
	v_fma_f64 v[83:84], v[83:84], v[101:102], v[91:92]
	v_add_co_u32 v91, vcc_lo, v89, s2
	v_add_co_ci_u32_e32 v92, vcc_lo, s5, v90, vcc_lo
	v_fma_f64 v[85:86], v[85:86], v[101:102], -v[93:94]
	global_load_b128 v[101:104], v[87:88], off offset:3904
	global_load_b128 v[87:90], v[91:92], off
	s_waitcnt vmcnt(1)
	scratch_store_b128 off, v[101:104], off offset:24 ; 16-byte Folded Spill
	s_waitcnt vmcnt(0)
	v_mul_f64 v[97:98], v[87:88], v[103:104]
	v_mul_f64 v[93:94], v[89:90], v[103:104]
	global_load_b128 v[103:106], v[0:1], off offset:1616
	v_fma_f64 v[89:90], v[89:90], v[101:102], -v[97:98]
	v_add_co_u32 v97, vcc_lo, v91, s3
	v_add_co_ci_u32_e32 v98, vcc_lo, s4, v92, vcc_lo
	v_fma_f64 v[87:88], v[87:88], v[101:102], v[93:94]
	global_load_b128 v[91:94], v[97:98], off
	s_waitcnt vmcnt(1)
	scratch_store_b128 off, v[103:106], off offset:40 ; 16-byte Folded Spill
	s_waitcnt vmcnt(0)
	v_mul_f64 v[0:1], v[93:94], v[105:106]
	v_mul_f64 v[101:102], v[91:92], v[105:106]
	global_load_b128 v[105:108], v[95:96], off offset:3424
	v_fma_f64 v[91:92], v[91:92], v[103:104], v[0:1]
	v_add_co_u32 v0, vcc_lo, v97, s3
	v_add_co_ci_u32_e32 v1, vcc_lo, s4, v98, vcc_lo
	v_fma_f64 v[93:94], v[93:94], v[103:104], -v[101:102]
	global_load_b128 v[95:98], v[0:1], off
	s_waitcnt vmcnt(1)
	scratch_store_b128 off, v[105:108], off offset:56 ; 16-byte Folded Spill
	s_waitcnt vmcnt(0)
	v_mul_f64 v[101:102], v[97:98], v[107:108]
	v_mul_f64 v[103:104], v[95:96], v[107:108]
	global_load_b128 v[107:110], v[2:3], off offset:1136
	v_fma_f64 v[95:96], v[95:96], v[105:106], v[101:102]
	v_add_co_u32 v101, vcc_lo, v0, s3
	v_add_co_ci_u32_e32 v102, vcc_lo, s4, v1, vcc_lo
	v_fma_f64 v[97:98], v[97:98], v[105:106], -v[103:104]
	global_load_b128 v[0:3], v[101:102], off
	v_add_co_u32 v101, vcc_lo, v101, s3
	v_add_co_ci_u32_e32 v102, vcc_lo, s4, v102, vcc_lo
	s_mov_b32 s2, 0x4755a5e
	s_mov_b32 s3, 0x3fe2cf23
	;; [unrolled: 1-line block ×3, first 2 shown]
	s_waitcnt vmcnt(1)
	scratch_store_b128 off, v[107:110], off offset:72 ; 16-byte Folded Spill
	s_waitcnt vmcnt(0)
	v_mul_f64 v[103:104], v[2:3], v[109:110]
	v_mul_f64 v[105:106], v[0:1], v[109:110]
	s_delay_alu instid0(VALU_DEP_2) | instskip(NEXT) | instid1(VALU_DEP_2)
	v_fma_f64 v[0:1], v[0:1], v[107:108], v[103:104]
	v_fma_f64 v[2:3], v[2:3], v[107:108], -v[105:106]
	global_load_b128 v[107:110], v[99:100], off offset:2944
	global_load_b128 v[99:102], v[101:102], off
	s_waitcnt vmcnt(1)
	scratch_store_b128 off, v[107:110], off offset:88 ; 16-byte Folded Spill
	s_waitcnt vmcnt(0)
	v_mul_f64 v[103:104], v[101:102], v[109:110]
	v_mul_f64 v[105:106], v[99:100], v[109:110]
	s_delay_alu instid0(VALU_DEP_2) | instskip(NEXT) | instid1(VALU_DEP_2)
	v_fma_f64 v[99:100], v[99:100], v[107:108], v[103:104]
	v_fma_f64 v[101:102], v[101:102], v[107:108], -v[105:106]
	ds_store_b128 v8, v[4:7]
	ds_store_b128 v8, v[11:14] offset:10000
	ds_store_b128 v8, v[15:18] offset:20000
	;; [unrolled: 1-line block ×24, first 2 shown]
	s_load_b128 s[4:7], s[6:7], 0x0
	s_waitcnt lgkmcnt(0)
	s_waitcnt_vscnt null, 0x0
	s_barrier
	buffer_gl0_inv
	ds_load_b128 v[0:3], v8 offset:10000
	ds_load_b128 v[16:19], v8
	ds_load_b128 v[4:7], v8 offset:20000
	s_waitcnt lgkmcnt(1)
	v_add_f64 v[11:12], v[16:17], v[0:1]
	s_waitcnt lgkmcnt(0)
	v_add_f64 v[166:167], v[0:1], -v[4:5]
	v_add_f64 v[170:171], v[4:5], -v[0:1]
	v_add_f64 v[174:175], v[2:3], -v[6:7]
	v_add_f64 v[176:177], v[6:7], -v[2:3]
	v_add_f64 v[20:21], v[11:12], v[4:5]
	v_add_f64 v[11:12], v[18:19], v[2:3]
	s_delay_alu instid0(VALU_DEP_1)
	v_add_f64 v[22:23], v[11:12], v[6:7]
	ds_load_b128 v[11:14], v8 offset:30000
	s_waitcnt lgkmcnt(0)
	v_add_f64 v[137:138], v[4:5], v[11:12]
	v_add_f64 v[164:165], v[6:7], -v[13:14]
	v_add_f64 v[139:140], v[6:7], v[13:14]
	v_add_f64 v[172:173], v[4:5], -v[11:12]
	ds_load_b128 v[4:7], v8 offset:40000
	s_waitcnt lgkmcnt(0)
	v_add_f64 v[178:179], v[2:3], -v[6:7]
	v_add_f64 v[141:142], v[0:1], v[4:5]
	v_add_f64 v[181:182], v[0:1], -v[4:5]
	v_add_f64 v[143:144], v[2:3], v[6:7]
	v_add_f64 v[0:1], v[20:21], v[11:12]
	v_add_f64 v[2:3], v[22:23], v[13:14]
	v_add_f64 v[183:184], v[4:5], -v[11:12]
	v_add_f64 v[185:186], v[11:12], -v[4:5]
	;; [unrolled: 1-line block ×4, first 2 shown]
	v_fma_f64 v[215:216], v[137:138], -0.5, v[16:17]
	v_fma_f64 v[219:220], v[139:140], -0.5, v[18:19]
	;; [unrolled: 1-line block ×4, first 2 shown]
	v_add_f64 v[0:1], v[0:1], v[4:5]
	v_add_f64 v[2:3], v[2:3], v[6:7]
	ds_load_b128 v[24:27], v8 offset:2000
	ds_load_b128 v[4:7], v8 offset:12000
	;; [unrolled: 1-line block ×3, first 2 shown]
	v_fma_f64 v[16:17], v[178:179], s[14:15], v[215:216]
	v_fma_f64 v[18:19], v[181:182], s[16:17], v[219:220]
	s_waitcnt lgkmcnt(1)
	v_add_f64 v[20:21], v[24:25], v[4:5]
	s_waitcnt lgkmcnt(0)
	v_add_f64 v[52:53], v[4:5], -v[11:12]
	v_add_f64 v[30:31], v[11:12], -v[4:5]
	;; [unrolled: 1-line block ×4, first 2 shown]
	v_fma_f64 v[16:17], v[164:165], s[2:3], v[16:17]
	v_fma_f64 v[18:19], v[172:173], s[8:9], v[18:19]
	v_add_f64 v[28:29], v[20:21], v[11:12]
	v_add_f64 v[20:21], v[26:27], v[6:7]
	s_delay_alu instid0(VALU_DEP_1)
	v_add_f64 v[32:33], v[20:21], v[13:14]
	ds_load_b128 v[20:23], v8 offset:32000
	s_waitcnt lgkmcnt(0)
	v_add_f64 v[145:146], v[11:12], v[20:21]
	v_add_f64 v[34:35], v[13:14], -v[22:23]
	v_add_f64 v[150:151], v[13:14], v[22:23]
	v_add_f64 v[40:41], v[11:12], -v[20:21]
	ds_load_b128 v[11:14], v8 offset:42000
	s_waitcnt lgkmcnt(0)
	v_add_f64 v[36:37], v[6:7], -v[13:14]
	v_add_f64 v[147:148], v[4:5], v[11:12]
	v_add_f64 v[38:39], v[4:5], -v[11:12]
	v_add_f64 v[168:169], v[6:7], v[13:14]
	v_add_f64 v[4:5], v[28:29], v[20:21]
	;; [unrolled: 1-line block ×3, first 2 shown]
	v_add_f64 v[64:65], v[11:12], -v[20:21]
	v_add_f64 v[46:47], v[20:21], -v[11:12]
	v_add_f64 v[68:69], v[13:14], -v[22:23]
	v_add_f64 v[48:49], v[22:23], -v[13:14]
	v_fma_f64 v[152:153], v[145:146], -0.5, v[24:25]
	v_fma_f64 v[154:155], v[150:151], -0.5, v[26:27]
	;; [unrolled: 1-line block ×3, first 2 shown]
	v_add_f64 v[24:25], v[166:167], v[183:184]
	v_fma_f64 v[150:151], v[168:169], -0.5, v[26:27]
	v_add_f64 v[4:5], v[4:5], v[11:12]
	v_add_f64 v[6:7], v[6:7], v[13:14]
	ds_load_b128 v[11:14], v8 offset:14000
	ds_load_b128 v[124:127], v8 offset:4000
	;; [unrolled: 1-line block ×4, first 2 shown]
	v_add_f64 v[64:65], v[52:53], v[64:65]
	v_add_f64 v[68:69], v[54:55], v[68:69]
	;; [unrolled: 1-line block ×5, first 2 shown]
	v_fma_f64 v[52:53], v[36:37], s[14:15], v[152:153]
	v_fma_f64 v[152:153], v[36:37], s[16:17], v[152:153]
	;; [unrolled: 1-line block ×6, first 2 shown]
	s_waitcnt lgkmcnt(2)
	v_add_f64 v[28:29], v[124:125], v[11:12]
	s_waitcnt lgkmcnt(1)
	v_add_f64 v[50:51], v[11:12], -v[20:21]
	s_waitcnt lgkmcnt(0)
	v_add_f64 v[191:192], v[20:21], v[74:75]
	v_add_f64 v[32:33], v[22:23], -v[76:77]
	v_add_f64 v[193:194], v[22:23], v[76:77]
	v_add_f64 v[44:45], v[20:21], -v[74:75]
	v_add_f64 v[62:63], v[13:14], -v[22:23]
	;; [unrolled: 1-line block ×3, first 2 shown]
	v_fma_f64 v[16:17], v[24:25], s[12:13], v[16:17]
	v_fma_f64 v[18:19], v[26:27], s[12:13], v[18:19]
	;; [unrolled: 1-line block ×8, first 2 shown]
	v_add_f64 v[66:67], v[28:29], v[20:21]
	v_add_f64 v[28:29], v[126:127], v[13:14]
	v_fma_f64 v[144:145], v[191:192], -0.5, v[124:125]
	v_fma_f64 v[146:147], v[193:194], -0.5, v[126:127]
	v_fma_f64 v[52:53], v[64:65], s[12:13], v[52:53]
	v_fma_f64 v[152:153], v[64:65], s[12:13], v[152:153]
	;; [unrolled: 1-line block ×8, first 2 shown]
	v_add_f64 v[70:71], v[28:29], v[22:23]
	v_add_f64 v[28:29], v[20:21], -v[11:12]
	ds_load_b128 v[20:23], v8 offset:44000
	s_waitcnt lgkmcnt(0)
	v_add_f64 v[56:57], v[13:14], -v[22:23]
	v_add_f64 v[195:196], v[11:12], v[20:21]
	v_add_f64 v[58:59], v[11:12], -v[20:21]
	v_add_f64 v[197:198], v[13:14], v[22:23]
	v_add_f64 v[11:12], v[66:67], v[74:75]
	v_add_f64 v[72:73], v[20:21], -v[74:75]
	v_add_f64 v[66:67], v[74:75], -v[20:21]
	;; [unrolled: 1-line block ×3, first 2 shown]
	v_fma_f64 v[46:47], v[36:37], s[2:3], v[64:65]
	v_fma_f64 v[48:49], v[36:37], s[8:9], v[34:35]
	;; [unrolled: 1-line block ×4, first 2 shown]
	v_add_f64 v[13:14], v[70:71], v[76:77]
	v_add_f64 v[70:71], v[76:77], -v[22:23]
	v_fma_f64 v[140:141], v[195:196], -0.5, v[124:125]
	v_fma_f64 v[142:143], v[197:198], -0.5, v[126:127]
	v_add_f64 v[160:161], v[11:12], v[20:21]
	v_fma_f64 v[34:35], v[30:31], s[12:13], v[46:47]
	v_fma_f64 v[38:39], v[30:31], s[12:13], v[48:49]
	;; [unrolled: 1-line block ×4, first 2 shown]
	v_add_f64 v[30:31], v[50:51], v[72:73]
	v_add_f64 v[42:43], v[62:63], v[74:75]
	v_fma_f64 v[46:47], v[56:57], s[14:15], v[144:145]
	v_fma_f64 v[48:49], v[58:59], s[16:17], v[146:147]
	v_add_f64 v[162:163], v[13:14], v[22:23]
	ds_load_b128 v[128:131], v8 offset:6000
	ds_load_b128 v[11:14], v8 offset:16000
	ds_load_b128 v[20:23], v8 offset:26000
	ds_load_b128 v[92:95], v8 offset:36000
	v_fma_f64 v[50:51], v[56:57], s[16:17], v[144:145]
	v_fma_f64 v[62:63], v[58:59], s[14:15], v[146:147]
	v_add_f64 v[60:61], v[60:61], v[70:71]
	s_waitcnt lgkmcnt(2)
	v_add_f64 v[76:77], v[128:129], v[11:12]
	s_waitcnt lgkmcnt(1)
	v_add_f64 v[82:83], v[11:12], -v[20:21]
	s_waitcnt lgkmcnt(0)
	v_add_f64 v[199:200], v[20:21], v[92:93]
	v_add_f64 v[78:79], v[22:23], -v[94:95]
	v_add_f64 v[201:202], v[22:23], v[94:95]
	v_add_f64 v[80:81], v[20:21], -v[92:93]
	v_add_f64 v[90:91], v[13:14], -v[22:23]
	;; [unrolled: 1-line block ×3, first 2 shown]
	v_fma_f64 v[46:47], v[32:33], s[2:3], v[46:47]
	v_fma_f64 v[48:49], v[44:45], s[8:9], v[48:49]
	;; [unrolled: 1-line block ×4, first 2 shown]
	v_add_f64 v[96:97], v[76:77], v[20:21]
	v_add_f64 v[76:77], v[130:131], v[13:14]
	v_fma_f64 v[168:169], v[199:200], -0.5, v[128:129]
	v_fma_f64 v[138:139], v[201:202], -0.5, v[130:131]
	v_fma_f64 v[46:47], v[30:31], s[12:13], v[46:47]
	v_fma_f64 v[48:49], v[42:43], s[12:13], v[48:49]
	;; [unrolled: 1-line block ×8, first 2 shown]
	v_add_f64 v[50:51], v[28:29], v[66:67]
	v_add_f64 v[98:99], v[76:77], v[22:23]
	v_add_f64 v[76:77], v[20:21], -v[11:12]
	ds_load_b128 v[20:23], v8 offset:46000
	s_waitcnt lgkmcnt(0)
	v_add_f64 v[86:87], v[13:14], -v[22:23]
	v_add_f64 v[203:204], v[11:12], v[20:21]
	v_add_f64 v[88:89], v[11:12], -v[20:21]
	v_add_f64 v[205:206], v[13:14], v[22:23]
	v_add_f64 v[11:12], v[96:97], v[92:93]
	v_add_f64 v[96:97], v[20:21], -v[92:93]
	v_add_f64 v[92:93], v[92:93], -v[20:21]
	v_fma_f64 v[28:29], v[56:57], s[2:3], v[30:31]
	v_fma_f64 v[32:33], v[56:57], s[8:9], v[32:33]
	;; [unrolled: 1-line block ×4, first 2 shown]
	v_add_f64 v[14:15], v[98:99], v[94:95]
	v_add_f64 v[98:99], v[22:23], -v[94:95]
	v_add_f64 v[94:95], v[94:95], -v[22:23]
	v_fma_f64 v[56:57], v[86:87], s[14:15], v[168:169]
	v_fma_f64 v[58:59], v[88:89], s[16:17], v[138:139]
	v_add_f64 v[12:13], v[11:12], v[20:21]
	v_and_b32_e32 v11, 0xff, v10
	v_fma_f64 v[28:29], v[50:51], s[12:13], v[28:29]
	v_fma_f64 v[42:43], v[50:51], s[12:13], v[32:33]
	v_add_f64 v[32:33], v[82:83], v[96:97]
	v_fma_f64 v[30:31], v[60:61], s[12:13], v[30:31]
	v_fma_f64 v[44:45], v[60:61], s[12:13], v[44:45]
	v_add_f64 v[60:61], v[76:77], v[92:93]
	v_add_f64 v[14:15], v[14:15], v[22:23]
	ds_load_b128 v[156:159], v8 offset:8000
	ds_load_b128 v[20:23], v8 offset:18000
	;; [unrolled: 1-line block ×3, first 2 shown]
	v_add_f64 v[50:51], v[90:91], v[98:99]
	ds_load_b128 v[120:123], v8 offset:38000
	ds_load_b128 v[132:135], v8 offset:48000
	v_add_f64 v[62:63], v[84:85], v[94:95]
	scratch_store_b32 off, v9, off offset:940 ; 4-byte Folded Spill
	s_waitcnt lgkmcnt(0)
	s_waitcnt_vscnt null, 0x0
	s_barrier
	buffer_gl0_inv
	v_add_f64 v[100:101], v[156:157], v[20:21]
	v_fma_f64 v[56:57], v[78:79], s[2:3], v[56:57]
	v_add_f64 v[102:103], v[20:21], -v[110:111]
	v_fma_f64 v[58:59], v[80:81], s[8:9], v[58:59]
	v_add_f64 v[207:208], v[110:111], v[120:121]
	v_add_f64 v[108:109], v[110:111], -v[20:21]
	v_add_f64 v[104:105], v[110:111], -v[120:121]
	;; [unrolled: 1-line block ×4, first 2 shown]
	v_add_f64 v[213:214], v[22:23], v[134:135]
	v_add_f64 v[209:210], v[112:113], v[122:123]
	;; [unrolled: 1-line block ×5, first 2 shown]
	v_add_f64 v[110:111], v[22:23], -v[134:135]
	v_fma_f64 v[66:67], v[50:51], s[12:13], v[58:59]
	v_fma_f64 v[58:59], v[88:89], s[14:15], v[138:139]
	;; [unrolled: 1-line block ×4, first 2 shown]
	v_fma_f64 v[124:125], v[207:208], -0.5, v[156:157]
	v_fma_f64 v[126:127], v[209:210], -0.5, v[158:159]
	v_add_f64 v[116:117], v[100:101], v[112:113]
	v_add_f64 v[100:101], v[112:113], -v[122:123]
	v_add_f64 v[112:113], v[20:21], -v[132:133]
	v_add_f64 v[20:21], v[114:115], v[120:121]
	v_fma_f64 v[58:59], v[80:81], s[2:3], v[58:59]
	v_fma_f64 v[56:57], v[78:79], s[8:9], v[56:57]
	v_add_f64 v[114:115], v[132:133], -v[120:121]
	v_add_f64 v[120:121], v[120:121], -v[132:133]
	v_add_f64 v[22:23], v[116:117], v[122:123]
	v_add_f64 v[116:117], v[134:135], -v[122:123]
	v_add_f64 v[122:123], v[122:123], -v[134:135]
	v_add_f64 v[20:21], v[20:21], v[132:133]
	v_fma_f64 v[132:133], v[203:204], -0.5, v[128:129]
	v_fma_f64 v[70:71], v[50:51], s[12:13], v[58:59]
	v_fma_f64 v[68:69], v[32:33], s[12:13], v[56:57]
	v_fma_f64 v[128:129], v[211:212], -0.5, v[156:157]
	v_fma_f64 v[156:157], v[178:179], s[16:17], v[215:216]
	v_add_f64 v[22:23], v[22:23], v[134:135]
	v_fma_f64 v[134:135], v[205:206], -0.5, v[130:131]
	v_fma_f64 v[130:131], v[213:214], -0.5, v[158:159]
	v_fma_f64 v[158:159], v[181:182], s[14:15], v[219:220]
	v_fma_f64 v[32:33], v[78:79], s[16:17], v[132:133]
	;; [unrolled: 1-line block ×12, first 2 shown]
	v_add_f64 v[156:157], v[170:171], v[185:186]
	v_fma_f64 v[170:171], v[178:179], s[8:9], v[164:165]
	v_fma_f64 v[58:59], v[88:89], s[2:3], v[58:59]
	;; [unrolled: 1-line block ×6, first 2 shown]
	v_add_f64 v[50:51], v[118:119], v[122:123]
	v_add_f64 v[32:33], v[108:109], v[120:121]
	;; [unrolled: 1-line block ×3, first 2 shown]
	v_fma_f64 v[172:173], v[181:182], s[2:3], v[172:173]
	v_fma_f64 v[164:165], v[156:157], s[12:13], v[166:167]
	;; [unrolled: 1-line block ×3, first 2 shown]
	v_add_f64 v[60:61], v[102:103], v[114:115]
	v_fma_f64 v[85:86], v[62:63], s[12:13], v[58:59]
	v_fma_f64 v[58:59], v[104:105], s[14:15], v[130:131]
	;; [unrolled: 1-line block ×4, first 2 shown]
	v_add_f64 v[62:63], v[106:107], v[116:117]
	v_fma_f64 v[166:167], v[158:159], s[12:13], v[174:175]
	v_fma_f64 v[158:159], v[158:159], s[12:13], v[172:173]
	ds_store_b128 v9, v[0:3]
	ds_store_b128 v9, v[16:19] offset:16
	ds_store_b128 v9, v[164:167] offset:32
	;; [unrolled: 1-line block ×4, first 2 shown]
	v_fma_f64 v[58:59], v[112:113], s[8:9], v[58:59]
	v_fma_f64 v[56:57], v[110:111], s[2:3], v[56:57]
	s_delay_alu instid0(VALU_DEP_2) | instskip(SKIP_1) | instid1(VALU_DEP_3)
	v_fma_f64 v[89:90], v[50:51], s[12:13], v[58:59]
	v_fma_f64 v[58:59], v[104:105], s[16:17], v[130:131]
	;; [unrolled: 1-line block ×4, first 2 shown]
	s_delay_alu instid0(VALU_DEP_3) | instskip(NEXT) | instid1(VALU_DEP_2)
	v_fma_f64 v[58:59], v[112:113], s[2:3], v[58:59]
	v_fma_f64 v[56:57], v[110:111], s[8:9], v[56:57]
	s_delay_alu instid0(VALU_DEP_2) | instskip(SKIP_1) | instid1(VALU_DEP_3)
	v_fma_f64 v[93:94], v[50:51], s[12:13], v[58:59]
	v_fma_f64 v[58:59], v[112:113], s[14:15], v[126:127]
	;; [unrolled: 1-line block ×7, first 2 shown]
	s_delay_alu instid0(VALU_DEP_4) | instskip(NEXT) | instid1(VALU_DEP_4)
	v_fma_f64 v[56:57], v[104:105], s[8:9], v[56:57]
	v_fma_f64 v[32:33], v[100:101], s[2:3], v[32:33]
	s_delay_alu instid0(VALU_DEP_4) | instskip(NEXT) | instid1(VALU_DEP_4)
	v_fma_f64 v[50:51], v[100:101], s[8:9], v[50:51]
	v_fma_f64 v[101:102], v[62:63], s[12:13], v[58:59]
	v_add_co_u32 v59, null, 0x7d, v223
	v_add_co_u32 v58, null, 0xfa, v223
	v_fma_f64 v[97:98], v[62:63], s[12:13], v[56:57]
	s_delay_alu instid0(VALU_DEP_3) | instskip(SKIP_2) | instid1(VALU_DEP_3)
	v_mul_u32_u24_e32 v0, 5, v59
	v_add_co_u32 v57, null, 0x177, v223
	v_add_co_u32 v56, null, 0x1f4, v223
	v_lshlrev_b32_e32 v0, 4, v0
	v_fma_f64 v[95:96], v[60:61], s[12:13], v[32:33]
	v_fma_f64 v[99:100], v[60:61], s[12:13], v[50:51]
	v_and_b32_e32 v61, 0xffff, v58
	v_and_b32_e32 v60, 0xffff, v57
	scratch_store_b32 off, v0, off offset:868 ; 4-byte Folded Spill
	ds_store_b128 v0, v[4:7]
	ds_store_b128 v0, v[52:55] offset:16
	ds_store_b128 v0, v[34:37] offset:32
	;; [unrolled: 1-line block ×4, first 2 shown]
	v_mul_u32_u24_e32 v0, 5, v58
	s_delay_alu instid0(VALU_DEP_1)
	v_lshlrev_b32_e32 v0, 4, v0
	scratch_store_b32 off, v0, off offset:800 ; 4-byte Folded Spill
	ds_store_b128 v0, v[160:163]
	ds_store_b128 v0, v[46:49] offset:16
	ds_store_b128 v0, v[28:31] offset:32
	;; [unrolled: 1-line block ×4, first 2 shown]
	v_mul_u32_u24_e32 v0, 5, v57
	s_delay_alu instid0(VALU_DEP_1)
	v_lshlrev_b32_e32 v0, 4, v0
	scratch_store_b32 off, v0, off offset:732 ; 4-byte Folded Spill
	ds_store_b128 v0, v[12:15]
	ds_store_b128 v0, v[64:67] offset:16
	ds_store_b128 v0, v[79:82] offset:32
	;; [unrolled: 1-line block ×4, first 2 shown]
	v_mul_u32_u24_e32 v0, 5, v56
	scratch_store_b32 off, v223, off offset:664 ; 4-byte Folded Spill
	v_and_b32_e32 v64, 0xff, v59
	v_lshlrev_b32_e32 v219, 4, v0
	v_mul_lo_u16 v0, 0xcd, v11
	ds_store_b128 v219, v[20:23]
	ds_store_b128 v219, v[95:98] offset:16
	ds_store_b128 v219, v[87:90] offset:32
	;; [unrolled: 1-line block ×4, first 2 shown]
	v_lshrrev_b16 v69, 10, v0
	s_waitcnt lgkmcnt(0)
	s_waitcnt_vscnt null, 0x0
	s_barrier
	buffer_gl0_inv
	v_mul_lo_u16 v0, v69, 5
	s_delay_alu instid0(VALU_DEP_1) | instskip(NEXT) | instid1(VALU_DEP_1)
	v_sub_nc_u16 v0, v10, v0
	v_and_b32_e32 v70, 0xff, v0
	ds_load_b128 v[0:3], v8 offset:10000
	v_lshlrev_b32_e32 v9, 6, v70
	global_load_b128 v[12:15], v9, s[10:11]
	s_waitcnt vmcnt(0) lgkmcnt(0)
	v_mul_f64 v[4:5], v[2:3], v[14:15]
	scratch_store_b128 off, v[12:15], off offset:408 ; 16-byte Folded Spill
	v_fma_f64 v[4:5], v[0:1], v[12:13], -v[4:5]
	v_mul_f64 v[0:1], v[0:1], v[14:15]
	global_load_b128 v[14:17], v9, s[10:11] offset:16
	v_fma_f64 v[6:7], v[2:3], v[12:13], v[0:1]
	ds_load_b128 v[0:3], v8 offset:20000
	s_waitcnt vmcnt(0) lgkmcnt(0)
	v_mul_f64 v[12:13], v[2:3], v[16:17]
	scratch_store_b128 off, v[14:17], off offset:424 ; 16-byte Folded Spill
	v_fma_f64 v[52:53], v[0:1], v[14:15], -v[12:13]
	v_mul_f64 v[0:1], v[0:1], v[16:17]
	s_delay_alu instid0(VALU_DEP_1)
	v_fma_f64 v[54:55], v[2:3], v[14:15], v[0:1]
	global_load_b128 v[14:17], v9, s[10:11] offset:32
	ds_load_b128 v[0:3], v8 offset:30000
	s_waitcnt vmcnt(0) lgkmcnt(0)
	v_mul_f64 v[12:13], v[2:3], v[16:17]
	scratch_store_b128 off, v[14:17], off offset:440 ; 16-byte Folded Spill
	v_fma_f64 v[62:63], v[0:1], v[14:15], -v[12:13]
	v_mul_f64 v[0:1], v[0:1], v[16:17]
	s_delay_alu instid0(VALU_DEP_2) | instskip(NEXT) | instid1(VALU_DEP_2)
	v_add_f64 v[93:94], v[52:53], -v[62:63]
	v_fma_f64 v[72:73], v[2:3], v[14:15], v[0:1]
	global_load_b128 v[14:17], v9, s[10:11] offset:48
	ds_load_b128 v[0:3], v8 offset:40000
	v_add_f64 v[89:90], v[54:55], -v[72:73]
	s_waitcnt vmcnt(0) lgkmcnt(0)
	v_mul_f64 v[12:13], v[2:3], v[16:17]
	scratch_store_b128 off, v[14:17], off offset:456 ; 16-byte Folded Spill
	v_fma_f64 v[78:79], v[0:1], v[14:15], -v[12:13]
	v_mul_f64 v[0:1], v[0:1], v[16:17]
	s_delay_alu instid0(VALU_DEP_2) | instskip(NEXT) | instid1(VALU_DEP_2)
	v_add_f64 v[91:92], v[4:5], -v[78:79]
	v_fma_f64 v[83:84], v[2:3], v[14:15], v[0:1]
	v_mul_lo_u16 v0, 0xcd, v64
	s_delay_alu instid0(VALU_DEP_1) | instskip(NEXT) | instid1(VALU_DEP_1)
	v_lshrrev_b16 v71, 10, v0
	v_mul_lo_u16 v0, v71, 5
	s_delay_alu instid0(VALU_DEP_1) | instskip(NEXT) | instid1(VALU_DEP_1)
	v_sub_nc_u16 v0, v59, v0
	v_and_b32_e32 v75, 0xff, v0
	ds_load_b128 v[0:3], v8 offset:12000
	v_lshlrev_b32_e32 v9, 6, v75
	global_load_b128 v[14:17], v9, s[10:11]
	v_add_f64 v[87:88], v[6:7], -v[83:84]
	s_waitcnt vmcnt(0) lgkmcnt(0)
	v_mul_f64 v[12:13], v[2:3], v[16:17]
	scratch_store_b128 off, v[14:17], off offset:472 ; 16-byte Folded Spill
	v_fma_f64 v[99:100], v[0:1], v[14:15], -v[12:13]
	v_mul_f64 v[0:1], v[0:1], v[16:17]
	s_delay_alu instid0(VALU_DEP_1)
	v_fma_f64 v[101:102], v[2:3], v[14:15], v[0:1]
	global_load_b128 v[14:17], v9, s[10:11] offset:16
	ds_load_b128 v[0:3], v8 offset:22000
	s_waitcnt vmcnt(0) lgkmcnt(0)
	v_mul_f64 v[12:13], v[2:3], v[16:17]
	scratch_store_b128 off, v[14:17], off offset:488 ; 16-byte Folded Spill
	v_fma_f64 v[103:104], v[0:1], v[14:15], -v[12:13]
	v_mul_f64 v[0:1], v[0:1], v[16:17]
	s_delay_alu instid0(VALU_DEP_1)
	v_fma_f64 v[105:106], v[2:3], v[14:15], v[0:1]
	global_load_b128 v[14:17], v9, s[10:11] offset:32
	ds_load_b128 v[0:3], v8 offset:32000
	s_waitcnt vmcnt(0) lgkmcnt(0)
	v_mul_f64 v[12:13], v[2:3], v[16:17]
	scratch_store_b128 off, v[14:17], off offset:504 ; 16-byte Folded Spill
	v_fma_f64 v[107:108], v[0:1], v[14:15], -v[12:13]
	v_mul_f64 v[0:1], v[0:1], v[16:17]
	s_delay_alu instid0(VALU_DEP_2) | instskip(NEXT) | instid1(VALU_DEP_2)
	v_add_f64 v[133:134], v[103:104], -v[107:108]
	v_fma_f64 v[109:110], v[2:3], v[14:15], v[0:1]
	global_load_b128 v[14:17], v9, s[10:11] offset:48
	ds_load_b128 v[0:3], v8 offset:42000
	s_waitcnt vmcnt(0) lgkmcnt(0)
	v_mul_f64 v[12:13], v[2:3], v[16:17]
	scratch_store_b128 off, v[14:17], off offset:520 ; 16-byte Folded Spill
	v_fma_f64 v[111:112], v[0:1], v[14:15], -v[12:13]
	v_mul_f64 v[0:1], v[0:1], v[16:17]
	s_delay_alu instid0(VALU_DEP_2) | instskip(NEXT) | instid1(VALU_DEP_2)
	v_add_f64 v[131:132], v[99:100], -v[111:112]
	v_fma_f64 v[113:114], v[2:3], v[14:15], v[0:1]
	v_mul_u32_u24_e32 v0, 0xcccd, v61
	s_delay_alu instid0(VALU_DEP_1) | instskip(NEXT) | instid1(VALU_DEP_1)
	v_lshrrev_b32_e32 v76, 18, v0
	v_mul_lo_u16 v0, v76, 5
	s_delay_alu instid0(VALU_DEP_1) | instskip(NEXT) | instid1(VALU_DEP_1)
	v_sub_nc_u16 v77, v58, v0
	v_lshlrev_b16 v0, 2, v77
	s_delay_alu instid0(VALU_DEP_1) | instskip(NEXT) | instid1(VALU_DEP_1)
	v_and_b32_e32 v0, 0xffff, v0
	v_lshlrev_b32_e32 v9, 4, v0
	ds_load_b128 v[0:3], v8 offset:14000
	global_load_b128 v[14:17], v9, s[10:11]
	s_waitcnt vmcnt(0) lgkmcnt(0)
	v_mul_f64 v[12:13], v[2:3], v[16:17]
	scratch_store_b128 off, v[14:17], off offset:536 ; 16-byte Folded Spill
	v_fma_f64 v[115:116], v[0:1], v[14:15], -v[12:13]
	v_mul_f64 v[0:1], v[0:1], v[16:17]
	s_delay_alu instid0(VALU_DEP_1)
	v_fma_f64 v[117:118], v[2:3], v[14:15], v[0:1]
	global_load_b128 v[14:17], v9, s[10:11] offset:16
	ds_load_b128 v[0:3], v8 offset:24000
	s_waitcnt vmcnt(0) lgkmcnt(0)
	v_mul_f64 v[12:13], v[2:3], v[16:17]
	scratch_store_b128 off, v[14:17], off offset:552 ; 16-byte Folded Spill
	v_fma_f64 v[119:120], v[0:1], v[14:15], -v[12:13]
	v_mul_f64 v[0:1], v[0:1], v[16:17]
	s_delay_alu instid0(VALU_DEP_2) | instskip(NEXT) | instid1(VALU_DEP_2)
	v_add_f64 v[137:138], v[119:120], -v[115:116]
	v_fma_f64 v[121:122], v[2:3], v[14:15], v[0:1]
	global_load_b128 v[14:17], v9, s[10:11] offset:32
	ds_load_b128 v[0:3], v8 offset:34000
	s_waitcnt vmcnt(0) lgkmcnt(0)
	v_mul_f64 v[12:13], v[2:3], v[16:17]
	scratch_store_b128 off, v[14:17], off offset:568 ; 16-byte Folded Spill
	v_fma_f64 v[123:124], v[0:1], v[14:15], -v[12:13]
	v_mul_f64 v[0:1], v[0:1], v[16:17]
	s_delay_alu instid0(VALU_DEP_1)
	v_fma_f64 v[125:126], v[2:3], v[14:15], v[0:1]
	global_load_b128 v[14:17], v9, s[10:11] offset:48
	ds_load_b128 v[0:3], v8 offset:44000
	s_waitcnt vmcnt(0) lgkmcnt(0)
	v_mul_f64 v[12:13], v[2:3], v[16:17]
	scratch_store_b128 off, v[14:17], off offset:584 ; 16-byte Folded Spill
	v_fma_f64 v[127:128], v[0:1], v[14:15], -v[12:13]
	v_mul_f64 v[0:1], v[0:1], v[16:17]
	s_delay_alu instid0(VALU_DEP_1) | instskip(SKIP_1) | instid1(VALU_DEP_1)
	v_fma_f64 v[129:130], v[2:3], v[14:15], v[0:1]
	v_mul_u32_u24_e32 v0, 0xcccd, v60
	v_lshrrev_b32_e32 v65, 18, v0
	s_delay_alu instid0(VALU_DEP_1) | instskip(NEXT) | instid1(VALU_DEP_1)
	v_mul_lo_u16 v0, v65, 5
	v_sub_nc_u16 v66, v57, v0
	s_delay_alu instid0(VALU_DEP_1) | instskip(NEXT) | instid1(VALU_DEP_1)
	v_lshlrev_b16 v0, 2, v66
	v_and_b32_e32 v0, 0xffff, v0
	s_delay_alu instid0(VALU_DEP_1)
	v_lshlrev_b32_e32 v9, 4, v0
	ds_load_b128 v[0:3], v8 offset:16000
	global_load_b128 v[14:17], v9, s[10:11]
	s_waitcnt vmcnt(0) lgkmcnt(0)
	v_mul_f64 v[12:13], v[2:3], v[16:17]
	scratch_store_b128 off, v[14:17], off offset:600 ; 16-byte Folded Spill
	v_fma_f64 v[22:23], v[0:1], v[14:15], -v[12:13]
	v_mul_f64 v[0:1], v[0:1], v[16:17]
	s_delay_alu instid0(VALU_DEP_1)
	v_fma_f64 v[20:21], v[2:3], v[14:15], v[0:1]
	global_load_b128 v[14:17], v9, s[10:11] offset:16
	ds_load_b128 v[0:3], v8 offset:26000
	s_waitcnt vmcnt(0) lgkmcnt(0)
	v_mul_f64 v[12:13], v[2:3], v[16:17]
	scratch_store_b128 off, v[14:17], off offset:616 ; 16-byte Folded Spill
	v_fma_f64 v[30:31], v[0:1], v[14:15], -v[12:13]
	v_mul_f64 v[0:1], v[0:1], v[16:17]
	s_delay_alu instid0(VALU_DEP_2) | instskip(NEXT) | instid1(VALU_DEP_2)
	v_add_f64 v[142:143], v[30:31], -v[22:23]
	v_fma_f64 v[24:25], v[2:3], v[14:15], v[0:1]
	global_load_b128 v[14:17], v9, s[10:11] offset:32
	ds_load_b128 v[0:3], v8 offset:36000
	s_waitcnt vmcnt(0) lgkmcnt(0)
	v_mul_f64 v[12:13], v[2:3], v[16:17]
	scratch_store_b128 off, v[14:17], off offset:632 ; 16-byte Folded Spill
	v_fma_f64 v[28:29], v[0:1], v[14:15], -v[12:13]
	v_mul_f64 v[0:1], v[0:1], v[16:17]
	s_delay_alu instid0(VALU_DEP_2) | instskip(NEXT) | instid1(VALU_DEP_2)
	v_add_f64 v[139:140], v[30:31], -v[28:29]
	v_fma_f64 v[26:27], v[2:3], v[14:15], v[0:1]
	global_load_b128 v[14:17], v9, s[10:11] offset:48
	ds_load_b128 v[0:3], v8 offset:46000
	v_and_b32_e32 v9, 0xffff, v56
	s_waitcnt vmcnt(0) lgkmcnt(0)
	v_mul_f64 v[12:13], v[2:3], v[16:17]
	scratch_store_b128 off, v[14:17], off offset:648 ; 16-byte Folded Spill
	v_fma_f64 v[48:49], v[0:1], v[14:15], -v[12:13]
	v_mul_f64 v[0:1], v[0:1], v[16:17]
	s_delay_alu instid0(VALU_DEP_1) | instskip(SKIP_1) | instid1(VALU_DEP_1)
	v_fma_f64 v[50:51], v[2:3], v[14:15], v[0:1]
	v_mul_u32_u24_e32 v0, 0xcccd, v9
	v_lshrrev_b32_e32 v67, 18, v0
	s_delay_alu instid0(VALU_DEP_1) | instskip(NEXT) | instid1(VALU_DEP_1)
	v_mul_lo_u16 v0, v67, 5
	v_sub_nc_u16 v68, v56, v0
	s_delay_alu instid0(VALU_DEP_1) | instskip(NEXT) | instid1(VALU_DEP_1)
	v_lshlrev_b16 v0, 2, v68
	v_and_b32_e32 v0, 0xffff, v0
	s_delay_alu instid0(VALU_DEP_1)
	v_lshlrev_b32_e32 v14, 4, v0
	ds_load_b128 v[0:3], v8 offset:18000
	global_load_b128 v[15:18], v14, s[10:11]
	s_waitcnt vmcnt(0) lgkmcnt(0)
	v_mul_f64 v[12:13], v[2:3], v[17:18]
	scratch_store_b128 off, v[15:18], off offset:668 ; 16-byte Folded Spill
	v_fma_f64 v[34:35], v[0:1], v[15:16], -v[12:13]
	v_mul_f64 v[0:1], v[0:1], v[17:18]
	s_delay_alu instid0(VALU_DEP_1)
	v_fma_f64 v[32:33], v[2:3], v[15:16], v[0:1]
	global_load_b128 v[15:18], v14, s[10:11] offset:16
	ds_load_b128 v[0:3], v8 offset:28000
	s_waitcnt vmcnt(0) lgkmcnt(0)
	v_mul_f64 v[12:13], v[2:3], v[17:18]
	scratch_store_b128 off, v[15:18], off offset:684 ; 16-byte Folded Spill
	v_fma_f64 v[42:43], v[0:1], v[15:16], -v[12:13]
	v_mul_f64 v[0:1], v[0:1], v[17:18]
	s_delay_alu instid0(VALU_DEP_2) | instskip(NEXT) | instid1(VALU_DEP_2)
	v_add_f64 v[146:147], v[42:43], -v[34:35]
	v_fma_f64 v[36:37], v[2:3], v[15:16], v[0:1]
	global_load_b128 v[15:18], v14, s[10:11] offset:32
	ds_load_b128 v[0:3], v8 offset:38000
	s_waitcnt vmcnt(0) lgkmcnt(0)
	v_mul_f64 v[12:13], v[2:3], v[17:18]
	scratch_store_b128 off, v[15:18], off offset:700 ; 16-byte Folded Spill
	v_fma_f64 v[40:41], v[0:1], v[15:16], -v[12:13]
	v_mul_f64 v[0:1], v[0:1], v[17:18]
	s_delay_alu instid0(VALU_DEP_2) | instskip(NEXT) | instid1(VALU_DEP_2)
	v_add_f64 v[144:145], v[42:43], -v[40:41]
	v_fma_f64 v[38:39], v[2:3], v[15:16], v[0:1]
	global_load_b128 v[14:17], v14, s[10:11] offset:48
	ds_load_b128 v[0:3], v8 offset:48000
	s_waitcnt vmcnt(0) lgkmcnt(0)
	v_mul_f64 v[12:13], v[2:3], v[16:17]
	scratch_store_b128 off, v[14:17], off offset:716 ; 16-byte Folded Spill
	v_fma_f64 v[44:45], v[0:1], v[14:15], -v[12:13]
	v_mul_f64 v[0:1], v[0:1], v[16:17]
	v_add_f64 v[16:17], v[52:53], v[62:63]
	s_delay_alu instid0(VALU_DEP_2) | instskip(SKIP_2) | instid1(VALU_DEP_1)
	v_fma_f64 v[46:47], v[2:3], v[14:15], v[0:1]
	v_add_f64 v[0:1], v[4:5], -v[52:53]
	v_add_f64 v[2:3], v[78:79], -v[62:63]
	v_add_f64 v[12:13], v[0:1], v[2:3]
	v_add_f64 v[0:1], v[6:7], -v[54:55]
	v_add_f64 v[2:3], v[83:84], -v[72:73]
	s_delay_alu instid0(VALU_DEP_1) | instskip(SKIP_4) | instid1(VALU_DEP_1)
	v_add_f64 v[14:15], v[0:1], v[2:3]
	ds_load_b128 v[0:3], v8
	s_waitcnt lgkmcnt(0)
	v_fma_f64 v[80:81], v[16:17], -0.5, v[0:1]
	v_add_f64 v[16:17], v[54:55], v[72:73]
	v_fma_f64 v[85:86], v[16:17], -0.5, v[2:3]
	s_delay_alu instid0(VALU_DEP_3) | instskip(SKIP_1) | instid1(VALU_DEP_3)
	v_fma_f64 v[16:17], v[87:88], s[14:15], v[80:81]
	v_fma_f64 v[80:81], v[87:88], s[16:17], v[80:81]
	;; [unrolled: 1-line block ×3, first 2 shown]
	s_delay_alu instid0(VALU_DEP_3) | instskip(SKIP_1) | instid1(VALU_DEP_4)
	v_fma_f64 v[16:17], v[89:90], s[2:3], v[16:17]
	v_fma_f64 v[85:86], v[91:92], s[14:15], v[85:86]
	;; [unrolled: 1-line block ×3, first 2 shown]
	s_delay_alu instid0(VALU_DEP_4) | instskip(NEXT) | instid1(VALU_DEP_4)
	v_fma_f64 v[18:19], v[93:94], s[8:9], v[18:19]
	v_fma_f64 v[16:17], v[12:13], s[12:13], v[16:17]
	s_delay_alu instid0(VALU_DEP_4) | instskip(NEXT) | instid1(VALU_DEP_4)
	v_fma_f64 v[85:86], v[93:94], s[2:3], v[85:86]
	v_fma_f64 v[12:13], v[12:13], s[12:13], v[80:81]
	v_add_f64 v[80:81], v[4:5], v[78:79]
	v_fma_f64 v[18:19], v[14:15], s[12:13], v[18:19]
	s_delay_alu instid0(VALU_DEP_4) | instskip(NEXT) | instid1(VALU_DEP_3)
	v_fma_f64 v[14:15], v[14:15], s[12:13], v[85:86]
	v_fma_f64 v[85:86], v[80:81], -0.5, v[0:1]
	v_add_f64 v[80:81], v[6:7], v[83:84]
	v_add_f64 v[0:1], v[0:1], v[4:5]
	v_add_f64 v[4:5], v[52:53], -v[4:5]
	s_delay_alu instid0(VALU_DEP_3) | instskip(SKIP_1) | instid1(VALU_DEP_4)
	v_fma_f64 v[95:96], v[80:81], -0.5, v[2:3]
	v_add_f64 v[2:3], v[2:3], v[6:7]
	v_add_f64 v[0:1], v[0:1], v[52:53]
	v_add_f64 v[6:7], v[54:55], -v[6:7]
	v_add_f64 v[52:53], v[62:63], -v[78:79]
	s_delay_alu instid0(VALU_DEP_4) | instskip(NEXT) | instid1(VALU_DEP_4)
	v_add_f64 v[2:3], v[2:3], v[54:55]
	v_add_f64 v[0:1], v[0:1], v[62:63]
	v_fma_f64 v[54:55], v[89:90], s[14:15], v[85:86]
	v_fma_f64 v[62:63], v[93:94], s[14:15], v[95:96]
	v_add_f64 v[4:5], v[4:5], v[52:53]
	v_add_f64 v[2:3], v[2:3], v[72:73]
	;; [unrolled: 1-line block ×3, first 2 shown]
	v_add_f64 v[0:1], v[72:73], -v[83:84]
	v_fma_f64 v[72:73], v[93:94], s[16:17], v[95:96]
	v_fma_f64 v[52:53], v[91:92], s[8:9], v[62:63]
	v_add_f64 v[62:63], v[101:102], -v[113:114]
	v_add_f64 v[81:82], v[2:3], v[83:84]
	v_fma_f64 v[2:3], v[89:90], s[16:17], v[85:86]
	v_add_f64 v[0:1], v[6:7], v[0:1]
	v_fma_f64 v[6:7], v[87:88], s[8:9], v[54:55]
	v_fma_f64 v[54:55], v[91:92], s[2:3], v[72:73]
	v_add_f64 v[72:73], v[105:106], -v[109:110]
	v_fma_f64 v[2:3], v[87:88], s[2:3], v[2:3]
	v_fma_f64 v[85:86], v[0:1], s[12:13], v[52:53]
	;; [unrolled: 1-line block ×4, first 2 shown]
	v_add_f64 v[0:1], v[99:100], -v[103:104]
	v_add_f64 v[52:53], v[103:104], v[107:108]
	v_add_f64 v[54:55], v[105:106], v[109:110]
	v_fma_f64 v[83:84], v[4:5], s[12:13], v[2:3]
	v_add_f64 v[2:3], v[111:112], -v[107:108]
	s_delay_alu instid0(VALU_DEP_1) | instskip(SKIP_2) | instid1(VALU_DEP_1)
	v_add_f64 v[4:5], v[0:1], v[2:3]
	v_add_f64 v[0:1], v[101:102], -v[105:106]
	v_add_f64 v[2:3], v[113:114], -v[109:110]
	v_add_f64 v[6:7], v[0:1], v[2:3]
	ds_load_b128 v[0:3], v8 offset:2000
	s_waitcnt lgkmcnt(0)
	v_fma_f64 v[52:53], v[52:53], -0.5, v[0:1]
	v_fma_f64 v[54:55], v[54:55], -0.5, v[2:3]
	s_delay_alu instid0(VALU_DEP_2) | instskip(NEXT) | instid1(VALU_DEP_2)
	v_fma_f64 v[91:92], v[62:63], s[14:15], v[52:53]
	v_fma_f64 v[93:94], v[131:132], s[16:17], v[54:55]
	;; [unrolled: 1-line block ×4, first 2 shown]
	s_delay_alu instid0(VALU_DEP_4) | instskip(NEXT) | instid1(VALU_DEP_4)
	v_fma_f64 v[91:92], v[72:73], s[2:3], v[91:92]
	v_fma_f64 v[93:94], v[133:134], s[8:9], v[93:94]
	s_delay_alu instid0(VALU_DEP_4) | instskip(NEXT) | instid1(VALU_DEP_4)
	v_fma_f64 v[52:53], v[72:73], s[8:9], v[52:53]
	v_fma_f64 v[54:55], v[133:134], s[2:3], v[54:55]
	;; [unrolled: 3-line block ×4, first 2 shown]
	v_add_f64 v[4:5], v[99:100], v[111:112]
	v_add_f64 v[6:7], v[101:102], v[113:114]
	v_add_f64 v[52:53], v[103:104], -v[99:100]
	v_add_f64 v[54:55], v[105:106], -v[101:102]
	s_delay_alu instid0(VALU_DEP_4) | instskip(NEXT) | instid1(VALU_DEP_4)
	v_fma_f64 v[4:5], v[4:5], -0.5, v[0:1]
	v_fma_f64 v[6:7], v[6:7], -0.5, v[2:3]
	v_add_f64 v[0:1], v[0:1], v[99:100]
	v_add_f64 v[2:3], v[2:3], v[101:102]
	s_delay_alu instid0(VALU_DEP_2) | instskip(NEXT) | instid1(VALU_DEP_2)
	v_add_f64 v[0:1], v[0:1], v[103:104]
	v_add_f64 v[2:3], v[2:3], v[105:106]
	v_add_f64 v[103:104], v[107:108], -v[111:112]
	s_delay_alu instid0(VALU_DEP_3) | instskip(NEXT) | instid1(VALU_DEP_3)
	v_add_f64 v[0:1], v[0:1], v[107:108]
	v_add_f64 v[2:3], v[2:3], v[109:110]
	s_delay_alu instid0(VALU_DEP_3) | instskip(NEXT) | instid1(VALU_DEP_3)
	v_add_f64 v[52:53], v[52:53], v[103:104]
	v_add_f64 v[99:100], v[0:1], v[111:112]
	s_delay_alu instid0(VALU_DEP_3)
	v_add_f64 v[101:102], v[2:3], v[113:114]
	v_add_f64 v[0:1], v[109:110], -v[113:114]
	v_fma_f64 v[2:3], v[72:73], s[16:17], v[4:5]
	v_fma_f64 v[4:5], v[72:73], s[14:15], v[4:5]
	;; [unrolled: 1-line block ×4, first 2 shown]
	v_add_f64 v[133:134], v[119:120], -v[123:124]
	v_add_f64 v[0:1], v[54:55], v[0:1]
	v_fma_f64 v[2:3], v[62:63], s[2:3], v[2:3]
	v_fma_f64 v[4:5], v[62:63], s[8:9], v[4:5]
	;; [unrolled: 1-line block ×4, first 2 shown]
	v_add_f64 v[62:63], v[117:118], -v[129:130]
	v_add_f64 v[131:132], v[115:116], -v[127:128]
	;; [unrolled: 1-line block ×3, first 2 shown]
	v_fma_f64 v[103:104], v[52:53], s[12:13], v[2:3]
	v_add_f64 v[2:3], v[127:128], -v[123:124]
	v_fma_f64 v[105:106], v[0:1], s[12:13], v[54:55]
	v_fma_f64 v[109:110], v[0:1], s[12:13], v[6:7]
	v_add_f64 v[0:1], v[115:116], -v[119:120]
	v_fma_f64 v[107:108], v[52:53], s[12:13], v[4:5]
	v_add_f64 v[4:5], v[129:130], -v[125:126]
	v_add_f64 v[52:53], v[119:120], v[123:124]
	v_add_f64 v[54:55], v[121:122], v[125:126]
	;; [unrolled: 1-line block ×3, first 2 shown]
	v_add_f64 v[2:3], v[117:118], -v[121:122]
	s_delay_alu instid0(VALU_DEP_1) | instskip(SKIP_4) | instid1(VALU_DEP_2)
	v_add_f64 v[2:3], v[2:3], v[4:5]
	ds_load_b128 v[4:7], v8 offset:4000
	s_waitcnt lgkmcnt(0)
	v_fma_f64 v[52:53], v[52:53], -0.5, v[4:5]
	v_fma_f64 v[54:55], v[54:55], -0.5, v[6:7]
	v_fma_f64 v[111:112], v[62:63], s[14:15], v[52:53]
	s_delay_alu instid0(VALU_DEP_2) | instskip(SKIP_2) | instid1(VALU_DEP_4)
	v_fma_f64 v[113:114], v[131:132], s[16:17], v[54:55]
	v_fma_f64 v[52:53], v[62:63], s[16:17], v[52:53]
	;; [unrolled: 1-line block ×4, first 2 shown]
	s_delay_alu instid0(VALU_DEP_4) | instskip(NEXT) | instid1(VALU_DEP_4)
	v_fma_f64 v[113:114], v[133:134], s[8:9], v[113:114]
	v_fma_f64 v[52:53], v[72:73], s[8:9], v[52:53]
	s_delay_alu instid0(VALU_DEP_4) | instskip(NEXT) | instid1(VALU_DEP_4)
	v_fma_f64 v[54:55], v[133:134], s[2:3], v[54:55]
	v_fma_f64 v[111:112], v[0:1], s[12:13], v[111:112]
	;; [unrolled: 3-line block ×3, first 2 shown]
	s_delay_alu instid0(VALU_DEP_4) | instskip(SKIP_2) | instid1(VALU_DEP_2)
	v_fma_f64 v[2:3], v[2:3], s[12:13], v[54:55]
	v_add_f64 v[52:53], v[115:116], v[127:128]
	v_add_f64 v[54:55], v[117:118], v[129:130]
	v_fma_f64 v[52:53], v[52:53], -0.5, v[4:5]
	s_delay_alu instid0(VALU_DEP_2) | instskip(SKIP_2) | instid1(VALU_DEP_2)
	v_fma_f64 v[54:55], v[54:55], -0.5, v[6:7]
	v_add_f64 v[4:5], v[4:5], v[115:116]
	v_add_f64 v[6:7], v[6:7], v[117:118]
	;; [unrolled: 1-line block ×3, first 2 shown]
	s_delay_alu instid0(VALU_DEP_2) | instskip(SKIP_2) | instid1(VALU_DEP_4)
	v_add_f64 v[6:7], v[6:7], v[121:122]
	v_add_f64 v[119:120], v[121:122], -v[117:118]
	v_add_f64 v[121:122], v[123:124], -v[127:128]
	v_add_f64 v[4:5], v[4:5], v[123:124]
	s_delay_alu instid0(VALU_DEP_4) | instskip(NEXT) | instid1(VALU_DEP_3)
	v_add_f64 v[6:7], v[6:7], v[125:126]
	v_add_f64 v[123:124], v[137:138], v[121:122]
	v_add_f64 v[137:138], v[22:23], -v[48:49]
	s_delay_alu instid0(VALU_DEP_4) | instskip(NEXT) | instid1(VALU_DEP_4)
	v_add_f64 v[115:116], v[4:5], v[127:128]
	v_add_f64 v[117:118], v[6:7], v[129:130]
	v_add_f64 v[4:5], v[125:126], -v[129:130]
	v_fma_f64 v[6:7], v[72:73], s[16:17], v[52:53]
	v_fma_f64 v[52:53], v[72:73], s[14:15], v[52:53]
	;; [unrolled: 1-line block ×4, first 2 shown]
	ds_load_b128 v[127:130], v8 offset:6000
	v_add_f64 v[133:134], v[24:25], -v[26:27]
	v_add_f64 v[4:5], v[119:120], v[4:5]
	v_fma_f64 v[6:7], v[62:63], s[2:3], v[6:7]
	v_fma_f64 v[52:53], v[62:63], s[8:9], v[52:53]
	;; [unrolled: 1-line block ×4, first 2 shown]
	v_add_f64 v[131:132], v[20:21], -v[50:51]
	v_fma_f64 v[119:120], v[123:124], s[12:13], v[6:7]
	v_add_f64 v[6:7], v[48:49], -v[28:29]
	v_fma_f64 v[121:122], v[4:5], s[12:13], v[62:63]
	v_fma_f64 v[125:126], v[4:5], s[12:13], v[54:55]
	v_add_f64 v[4:5], v[22:23], -v[30:31]
	v_fma_f64 v[123:124], v[123:124], s[12:13], v[52:53]
	s_delay_alu instid0(VALU_DEP_2) | instskip(SKIP_2) | instid1(VALU_DEP_1)
	v_add_f64 v[52:53], v[4:5], v[6:7]
	v_add_f64 v[4:5], v[20:21], -v[24:25]
	v_add_f64 v[6:7], v[50:51], -v[26:27]
	v_add_f64 v[54:55], v[4:5], v[6:7]
	v_add_f64 v[4:5], v[30:31], v[28:29]
	s_waitcnt lgkmcnt(0)
	s_delay_alu instid0(VALU_DEP_1) | instskip(SKIP_1) | instid1(VALU_DEP_1)
	v_fma_f64 v[62:63], v[4:5], -0.5, v[127:128]
	v_add_f64 v[4:5], v[24:25], v[26:27]
	v_fma_f64 v[72:73], v[4:5], -0.5, v[129:130]
	s_delay_alu instid0(VALU_DEP_3) | instskip(SKIP_1) | instid1(VALU_DEP_3)
	v_fma_f64 v[4:5], v[131:132], s[14:15], v[62:63]
	v_fma_f64 v[62:63], v[131:132], s[16:17], v[62:63]
	;; [unrolled: 1-line block ×3, first 2 shown]
	s_delay_alu instid0(VALU_DEP_3) | instskip(SKIP_1) | instid1(VALU_DEP_4)
	v_fma_f64 v[4:5], v[133:134], s[2:3], v[4:5]
	v_fma_f64 v[72:73], v[137:138], s[14:15], v[72:73]
	;; [unrolled: 1-line block ×3, first 2 shown]
	s_delay_alu instid0(VALU_DEP_4) | instskip(NEXT) | instid1(VALU_DEP_4)
	v_fma_f64 v[6:7], v[139:140], s[8:9], v[6:7]
	v_fma_f64 v[4:5], v[52:53], s[12:13], v[4:5]
	s_delay_alu instid0(VALU_DEP_4) | instskip(NEXT) | instid1(VALU_DEP_4)
	v_fma_f64 v[72:73], v[139:140], s[2:3], v[72:73]
	v_fma_f64 v[52:53], v[52:53], s[12:13], v[62:63]
	v_add_f64 v[62:63], v[22:23], v[48:49]
	v_fma_f64 v[6:7], v[54:55], s[12:13], v[6:7]
	s_delay_alu instid0(VALU_DEP_4) | instskip(SKIP_1) | instid1(VALU_DEP_4)
	v_fma_f64 v[54:55], v[54:55], s[12:13], v[72:73]
	v_add_f64 v[72:73], v[20:21], v[50:51]
	v_fma_f64 v[62:63], v[62:63], -0.5, v[127:128]
	v_add_f64 v[127:128], v[127:128], v[22:23]
	s_delay_alu instid0(VALU_DEP_3) | instskip(SKIP_1) | instid1(VALU_DEP_3)
	v_fma_f64 v[72:73], v[72:73], -0.5, v[129:130]
	v_add_f64 v[129:130], v[129:130], v[20:21]
	v_add_f64 v[22:23], v[127:128], v[30:31]
	;; [unrolled: 1-line block ×3, first 2 shown]
	s_delay_alu instid0(VALU_DEP_3) | instskip(SKIP_1) | instid1(VALU_DEP_4)
	v_add_f64 v[30:31], v[129:130], v[24:25]
	v_add_f64 v[24:25], v[24:25], -v[20:21]
	v_add_f64 v[20:21], v[22:23], v[28:29]
	v_add_f64 v[28:29], v[28:29], -v[48:49]
	s_delay_alu instid0(VALU_DEP_4) | instskip(SKIP_1) | instid1(VALU_DEP_4)
	v_add_f64 v[22:23], v[30:31], v[26:27]
	v_add_f64 v[26:27], v[26:27], -v[50:51]
	v_add_f64 v[20:21], v[20:21], v[48:49]
	v_fma_f64 v[30:31], v[133:134], s[16:17], v[62:63]
	v_fma_f64 v[48:49], v[133:134], s[14:15], v[62:63]
	;; [unrolled: 1-line block ×3, first 2 shown]
	v_add_f64 v[28:29], v[142:143], v[28:29]
	v_add_f64 v[142:143], v[34:35], -v[44:45]
	v_add_f64 v[22:23], v[22:23], v[50:51]
	v_fma_f64 v[50:51], v[139:140], s[14:15], v[72:73]
	v_add_f64 v[72:73], v[24:25], v[26:27]
	v_fma_f64 v[24:25], v[131:132], s[2:3], v[30:31]
	v_fma_f64 v[30:31], v[131:132], s[8:9], v[48:49]
	;; [unrolled: 1-line block ×3, first 2 shown]
	v_add_f64 v[139:140], v[36:37], -v[38:39]
	v_fma_f64 v[26:27], v[137:138], s[8:9], v[50:51]
	v_add_f64 v[50:51], v[44:45], -v[40:41]
	v_fma_f64 v[24:25], v[28:29], s[12:13], v[24:25]
	v_fma_f64 v[28:29], v[28:29], s[12:13], v[30:31]
	v_fma_f64 v[30:31], v[72:73], s[12:13], v[48:49]
	v_add_f64 v[48:49], v[34:35], -v[42:43]
	v_add_f64 v[137:138], v[32:33], -v[46:47]
	v_fma_f64 v[26:27], v[72:73], s[12:13], v[26:27]
	s_delay_alu instid0(VALU_DEP_3) | instskip(SKIP_2) | instid1(VALU_DEP_1)
	v_add_f64 v[62:63], v[48:49], v[50:51]
	v_add_f64 v[48:49], v[32:33], -v[36:37]
	v_add_f64 v[50:51], v[46:47], -v[38:39]
	v_add_f64 v[72:73], v[48:49], v[50:51]
	ds_load_b128 v[48:51], v8 offset:8000
	s_waitcnt lgkmcnt(0)
	s_waitcnt_vscnt null, 0x0
	s_barrier
	buffer_gl0_inv
	v_fma_f64 v[131:132], v[127:128], -0.5, v[48:49]
	v_add_f64 v[127:128], v[36:37], v[38:39]
	s_delay_alu instid0(VALU_DEP_1) | instskip(NEXT) | instid1(VALU_DEP_3)
	v_fma_f64 v[133:134], v[127:128], -0.5, v[50:51]
	v_fma_f64 v[127:128], v[137:138], s[14:15], v[131:132]
	v_fma_f64 v[131:132], v[137:138], s[16:17], v[131:132]
	s_delay_alu instid0(VALU_DEP_3) | instskip(NEXT) | instid1(VALU_DEP_3)
	v_fma_f64 v[129:130], v[142:143], s[16:17], v[133:134]
	v_fma_f64 v[127:128], v[139:140], s[2:3], v[127:128]
	;; [unrolled: 1-line block ×3, first 2 shown]
	s_delay_alu instid0(VALU_DEP_4) | instskip(NEXT) | instid1(VALU_DEP_4)
	v_fma_f64 v[131:132], v[139:140], s[8:9], v[131:132]
	v_fma_f64 v[129:130], v[144:145], s[8:9], v[129:130]
	s_delay_alu instid0(VALU_DEP_4) | instskip(NEXT) | instid1(VALU_DEP_4)
	v_fma_f64 v[127:128], v[62:63], s[12:13], v[127:128]
	v_fma_f64 v[133:134], v[144:145], s[2:3], v[133:134]
	s_delay_alu instid0(VALU_DEP_4) | instskip(SKIP_2) | instid1(VALU_DEP_4)
	v_fma_f64 v[131:132], v[62:63], s[12:13], v[131:132]
	v_add_f64 v[62:63], v[34:35], v[44:45]
	v_fma_f64 v[129:130], v[72:73], s[12:13], v[129:130]
	v_fma_f64 v[133:134], v[72:73], s[12:13], v[133:134]
	v_add_f64 v[72:73], v[32:33], v[46:47]
	s_delay_alu instid0(VALU_DEP_4) | instskip(SKIP_1) | instid1(VALU_DEP_3)
	v_fma_f64 v[62:63], v[62:63], -0.5, v[48:49]
	v_add_f64 v[48:49], v[48:49], v[34:35]
	v_fma_f64 v[72:73], v[72:73], -0.5, v[50:51]
	v_add_f64 v[50:51], v[50:51], v[32:33]
	s_delay_alu instid0(VALU_DEP_3) | instskip(NEXT) | instid1(VALU_DEP_3)
	v_add_f64 v[34:35], v[48:49], v[42:43]
	v_fma_f64 v[48:49], v[144:145], s[16:17], v[72:73]
	s_delay_alu instid0(VALU_DEP_3) | instskip(SKIP_1) | instid1(VALU_DEP_4)
	v_add_f64 v[42:43], v[50:51], v[36:37]
	v_add_f64 v[36:37], v[36:37], -v[32:33]
	v_add_f64 v[32:33], v[34:35], v[40:41]
	v_add_f64 v[40:41], v[40:41], -v[44:45]
	s_delay_alu instid0(VALU_DEP_4) | instskip(SKIP_1) | instid1(VALU_DEP_4)
	v_add_f64 v[34:35], v[42:43], v[38:39]
	v_add_f64 v[38:39], v[38:39], -v[46:47]
	v_add_f64 v[32:33], v[32:33], v[44:45]
	v_fma_f64 v[42:43], v[139:140], s[16:17], v[62:63]
	v_fma_f64 v[44:45], v[139:140], s[14:15], v[62:63]
	v_add_f64 v[40:41], v[146:147], v[40:41]
	v_add_f64 v[34:35], v[34:35], v[46:47]
	;; [unrolled: 1-line block ×3, first 2 shown]
	v_fma_f64 v[46:47], v[144:145], s[14:15], v[72:73]
	v_fma_f64 v[36:37], v[137:138], s[2:3], v[42:43]
	;; [unrolled: 1-line block ×4, first 2 shown]
	s_delay_alu instid0(VALU_DEP_4) | instskip(NEXT) | instid1(VALU_DEP_4)
	v_fma_f64 v[38:39], v[142:143], s[8:9], v[46:47]
	v_fma_f64 v[36:37], v[40:41], s[12:13], v[36:37]
	s_delay_alu instid0(VALU_DEP_4) | instskip(NEXT) | instid1(VALU_DEP_4)
	v_fma_f64 v[40:41], v[40:41], s[12:13], v[42:43]
	v_fma_f64 v[42:43], v[50:51], s[12:13], v[44:45]
	v_and_b32_e32 v44, 0xffff, v69
	s_delay_alu instid0(VALU_DEP_1) | instskip(NEXT) | instid1(VALU_DEP_1)
	v_mul_u32_u24_e32 v44, 25, v44
	v_add_lshl_u32 v218, v44, v70, 4
	ds_store_b128 v218, v[79:82]
	ds_store_b128 v218, v[16:19] offset:80
	ds_store_b128 v218, v[83:86] offset:160
	;; [unrolled: 1-line block ×4, first 2 shown]
	v_and_b32_e32 v12, 0xffff, v71
	s_delay_alu instid0(VALU_DEP_1) | instskip(NEXT) | instid1(VALU_DEP_1)
	v_mul_u32_u24_e32 v12, 25, v12
	v_add_lshl_u32 v12, v12, v75, 4
	scratch_store_b32 off, v12, off offset:872 ; 4-byte Folded Spill
	ds_store_b128 v12, v[99:102]
	ds_store_b128 v12, v[91:94] offset:80
	ds_store_b128 v12, v[103:106] offset:160
	;; [unrolled: 1-line block ×4, first 2 shown]
	v_mad_u16 v12, v76, 25, v77
	v_fma_f64 v[38:39], v[50:51], s[12:13], v[38:39]
	s_delay_alu instid0(VALU_DEP_2) | instskip(NEXT) | instid1(VALU_DEP_1)
	v_and_b32_e32 v12, 0xffff, v12
	v_lshlrev_b32_e32 v12, 4, v12
	ds_store_b128 v12, v[115:118]
	ds_store_b128 v12, v[111:114] offset:80
	ds_store_b128 v12, v[119:122] offset:160
	;; [unrolled: 1-line block ×4, first 2 shown]
	v_mad_u16 v0, v65, 25, v66
	s_delay_alu instid0(VALU_DEP_1) | instskip(NEXT) | instid1(VALU_DEP_1)
	v_and_b32_e32 v0, 0xffff, v0
	v_lshlrev_b32_e32 v0, 4, v0
	s_clause 0x1
	scratch_store_b32 off, v12, off offset:1516
	scratch_store_b32 off, v0, off offset:1404
	ds_store_b128 v0, v[20:23]
	ds_store_b128 v0, v[4:7] offset:80
	ds_store_b128 v0, v[24:27] offset:160
	;; [unrolled: 1-line block ×4, first 2 shown]
	v_mad_u16 v0, v67, 25, v68
	s_delay_alu instid0(VALU_DEP_1) | instskip(NEXT) | instid1(VALU_DEP_1)
	v_and_b32_e32 v0, 0xffff, v0
	v_lshlrev_b32_e32 v0, 4, v0
	scratch_store_b32 off, v0, off offset:1028 ; 4-byte Folded Spill
	ds_store_b128 v0, v[32:35]
	ds_store_b128 v0, v[127:130] offset:80
	ds_store_b128 v0, v[36:39] offset:160
	;; [unrolled: 1-line block ×4, first 2 shown]
	v_mul_lo_u16 v0, v11, 41
	s_waitcnt lgkmcnt(0)
	s_waitcnt_vscnt null, 0x0
	s_barrier
	buffer_gl0_inv
	v_lshrrev_b16 v42, 10, v0
	s_delay_alu instid0(VALU_DEP_1) | instskip(NEXT) | instid1(VALU_DEP_1)
	v_mul_lo_u16 v0, v42, 25
	v_sub_nc_u16 v0, v10, v0
	s_delay_alu instid0(VALU_DEP_1)
	v_and_b32_e32 v43, 0xff, v0
	ds_load_b128 v[0:3], v8 offset:10000
	v_lshlrev_b32_e32 v6, 6, v43
	global_load_b128 v[10:13], v6, s[10:11] offset:320
	s_waitcnt vmcnt(0) lgkmcnt(0)
	v_mul_f64 v[4:5], v[2:3], v[12:13]
	scratch_store_b128 off, v[10:13], off offset:736 ; 16-byte Folded Spill
	v_fma_f64 v[62:63], v[0:1], v[10:11], -v[4:5]
	v_mul_f64 v[0:1], v[0:1], v[12:13]
	s_delay_alu instid0(VALU_DEP_1)
	v_fma_f64 v[65:66], v[2:3], v[10:11], v[0:1]
	global_load_b128 v[10:13], v6, s[10:11] offset:336
	ds_load_b128 v[0:3], v8 offset:20000
	s_waitcnt vmcnt(0) lgkmcnt(0)
	v_mul_f64 v[4:5], v[2:3], v[12:13]
	scratch_store_b128 off, v[10:13], off offset:752 ; 16-byte Folded Spill
	v_fma_f64 v[67:68], v[0:1], v[10:11], -v[4:5]
	v_mul_f64 v[0:1], v[0:1], v[12:13]
	s_delay_alu instid0(VALU_DEP_1)
	v_fma_f64 v[69:70], v[2:3], v[10:11], v[0:1]
	global_load_b128 v[10:13], v6, s[10:11] offset:352
	ds_load_b128 v[0:3], v8 offset:30000
	s_waitcnt vmcnt(0) lgkmcnt(0)
	v_mul_f64 v[4:5], v[2:3], v[12:13]
	scratch_store_b128 off, v[10:13], off offset:768 ; 16-byte Folded Spill
	v_fma_f64 v[71:72], v[0:1], v[10:11], -v[4:5]
	v_mul_f64 v[0:1], v[0:1], v[12:13]
	s_delay_alu instid0(VALU_DEP_2) | instskip(NEXT) | instid1(VALU_DEP_2)
	v_add_f64 v[89:90], v[67:68], -v[71:72]
	v_fma_f64 v[73:74], v[2:3], v[10:11], v[0:1]
	global_load_b128 v[10:13], v6, s[10:11] offset:368
	ds_load_b128 v[0:3], v8 offset:40000
	v_add_f64 v[85:86], v[69:70], -v[73:74]
	s_waitcnt vmcnt(0) lgkmcnt(0)
	v_mul_f64 v[4:5], v[2:3], v[12:13]
	scratch_store_b128 off, v[10:13], off offset:784 ; 16-byte Folded Spill
	v_fma_f64 v[75:76], v[0:1], v[10:11], -v[4:5]
	v_mul_f64 v[0:1], v[0:1], v[12:13]
	s_delay_alu instid0(VALU_DEP_2) | instskip(NEXT) | instid1(VALU_DEP_2)
	v_add_f64 v[87:88], v[62:63], -v[75:76]
	v_fma_f64 v[77:78], v[2:3], v[10:11], v[0:1]
	v_mul_lo_u16 v0, v64, 41
	s_delay_alu instid0(VALU_DEP_1) | instskip(NEXT) | instid1(VALU_DEP_1)
	v_lshrrev_b16 v44, 10, v0
	v_mul_lo_u16 v0, v44, 25
	s_delay_alu instid0(VALU_DEP_1) | instskip(NEXT) | instid1(VALU_DEP_1)
	v_sub_nc_u16 v0, v59, v0
	v_and_b32_e32 v45, 0xff, v0
	ds_load_b128 v[0:3], v8 offset:12000
	v_lshlrev_b32_e32 v6, 6, v45
	global_load_b128 v[10:13], v6, s[10:11] offset:320
	v_add_f64 v[83:84], v[65:66], -v[77:78]
	s_waitcnt vmcnt(0) lgkmcnt(0)
	v_mul_f64 v[4:5], v[2:3], v[12:13]
	scratch_store_b128 off, v[10:13], off offset:804 ; 16-byte Folded Spill
	v_fma_f64 v[91:92], v[0:1], v[10:11], -v[4:5]
	v_mul_f64 v[0:1], v[0:1], v[12:13]
	s_delay_alu instid0(VALU_DEP_1)
	v_fma_f64 v[93:94], v[2:3], v[10:11], v[0:1]
	global_load_b128 v[10:13], v6, s[10:11] offset:336
	ds_load_b128 v[0:3], v8 offset:22000
	s_waitcnt vmcnt(0) lgkmcnt(0)
	v_mul_f64 v[4:5], v[2:3], v[12:13]
	scratch_store_b128 off, v[10:13], off offset:820 ; 16-byte Folded Spill
	v_fma_f64 v[95:96], v[0:1], v[10:11], -v[4:5]
	v_mul_f64 v[0:1], v[0:1], v[12:13]
	s_delay_alu instid0(VALU_DEP_1)
	v_fma_f64 v[97:98], v[2:3], v[10:11], v[0:1]
	global_load_b128 v[10:13], v6, s[10:11] offset:352
	ds_load_b128 v[0:3], v8 offset:32000
	s_waitcnt vmcnt(0) lgkmcnt(0)
	v_mul_f64 v[4:5], v[2:3], v[12:13]
	scratch_store_b128 off, v[10:13], off offset:836 ; 16-byte Folded Spill
	v_fma_f64 v[99:100], v[0:1], v[10:11], -v[4:5]
	v_mul_f64 v[0:1], v[0:1], v[12:13]
	s_delay_alu instid0(VALU_DEP_2) | instskip(NEXT) | instid1(VALU_DEP_2)
	v_add_f64 v[129:130], v[95:96], -v[99:100]
	v_fma_f64 v[101:102], v[2:3], v[10:11], v[0:1]
	global_load_b128 v[10:13], v6, s[10:11] offset:368
	ds_load_b128 v[0:3], v8 offset:42000
	v_add_f64 v[109:110], v[97:98], -v[101:102]
	s_waitcnt vmcnt(0) lgkmcnt(0)
	v_mul_f64 v[4:5], v[2:3], v[12:13]
	scratch_store_b128 off, v[10:13], off offset:852 ; 16-byte Folded Spill
	v_fma_f64 v[103:104], v[0:1], v[10:11], -v[4:5]
	v_mul_f64 v[0:1], v[0:1], v[12:13]
	s_delay_alu instid0(VALU_DEP_2) | instskip(NEXT) | instid1(VALU_DEP_2)
	v_add_f64 v[127:128], v[91:92], -v[103:104]
	v_fma_f64 v[105:106], v[2:3], v[10:11], v[0:1]
	v_mul_u32_u24_e32 v0, 0x47af, v61
	s_delay_alu instid0(VALU_DEP_1) | instskip(NEXT) | instid1(VALU_DEP_1)
	v_lshrrev_b32_e32 v0, 16, v0
	v_sub_nc_u16 v1, v58, v0
	s_delay_alu instid0(VALU_DEP_1) | instskip(NEXT) | instid1(VALU_DEP_1)
	v_lshrrev_b16 v1, 1, v1
	v_add_nc_u16 v0, v1, v0
	s_delay_alu instid0(VALU_DEP_1) | instskip(NEXT) | instid1(VALU_DEP_1)
	v_lshrrev_b16 v46, 4, v0
	v_mul_lo_u16 v0, v46, 25
	s_delay_alu instid0(VALU_DEP_1) | instskip(SKIP_1) | instid1(VALU_DEP_2)
	v_sub_nc_u16 v47, v58, v0
	v_add_f64 v[107:108], v[93:94], -v[105:106]
	v_lshlrev_b16 v0, 6, v47
	s_delay_alu instid0(VALU_DEP_1) | instskip(NEXT) | instid1(VALU_DEP_1)
	v_and_b32_e32 v0, 0xffff, v0
	v_add_co_u32 v4, s18, s10, v0
	s_delay_alu instid0(VALU_DEP_1)
	v_add_co_ci_u32_e64 v5, null, s11, 0, s18
	ds_load_b128 v[0:3], v8 offset:14000
	global_load_b128 v[10:13], v[4:5], off offset:320
	s_waitcnt vmcnt(0) lgkmcnt(0)
	v_mul_f64 v[6:7], v[2:3], v[12:13]
	scratch_store_b128 off, v[10:13], off offset:876 ; 16-byte Folded Spill
	v_fma_f64 v[111:112], v[0:1], v[10:11], -v[6:7]
	v_mul_f64 v[0:1], v[0:1], v[12:13]
	s_delay_alu instid0(VALU_DEP_1)
	v_fma_f64 v[113:114], v[2:3], v[10:11], v[0:1]
	global_load_b128 v[10:13], v[4:5], off offset:336
	ds_load_b128 v[0:3], v8 offset:24000
	s_waitcnt vmcnt(0) lgkmcnt(0)
	v_mul_f64 v[6:7], v[2:3], v[12:13]
	scratch_store_b128 off, v[10:13], off offset:892 ; 16-byte Folded Spill
	v_fma_f64 v[115:116], v[0:1], v[10:11], -v[6:7]
	v_mul_f64 v[0:1], v[0:1], v[12:13]
	s_delay_alu instid0(VALU_DEP_1)
	v_fma_f64 v[117:118], v[2:3], v[10:11], v[0:1]
	global_load_b128 v[10:13], v[4:5], off offset:352
	ds_load_b128 v[0:3], v8 offset:34000
	s_waitcnt vmcnt(0) lgkmcnt(0)
	v_mul_f64 v[6:7], v[2:3], v[12:13]
	scratch_store_b128 off, v[10:13], off offset:908 ; 16-byte Folded Spill
	v_fma_f64 v[119:120], v[0:1], v[10:11], -v[6:7]
	v_mul_f64 v[0:1], v[0:1], v[12:13]
	s_delay_alu instid0(VALU_DEP_2) | instskip(NEXT) | instid1(VALU_DEP_2)
	v_add_f64 v[133:134], v[115:116], -v[119:120]
	v_fma_f64 v[121:122], v[2:3], v[10:11], v[0:1]
	global_load_b128 v[10:13], v[4:5], off offset:368
	ds_load_b128 v[0:3], v8 offset:44000
	s_waitcnt vmcnt(0) lgkmcnt(0)
	v_mul_f64 v[4:5], v[2:3], v[12:13]
	scratch_store_b128 off, v[10:13], off offset:924 ; 16-byte Folded Spill
	v_fma_f64 v[123:124], v[0:1], v[10:11], -v[4:5]
	v_mul_f64 v[0:1], v[0:1], v[12:13]
	s_delay_alu instid0(VALU_DEP_2) | instskip(NEXT) | instid1(VALU_DEP_2)
	v_add_f64 v[131:132], v[111:112], -v[123:124]
	v_fma_f64 v[125:126], v[2:3], v[10:11], v[0:1]
	v_mul_u32_u24_e32 v0, 0x47af, v60
	s_delay_alu instid0(VALU_DEP_1) | instskip(NEXT) | instid1(VALU_DEP_1)
	v_lshrrev_b32_e32 v0, 16, v0
	v_sub_nc_u16 v1, v57, v0
	s_delay_alu instid0(VALU_DEP_1) | instskip(NEXT) | instid1(VALU_DEP_1)
	v_lshrrev_b16 v1, 1, v1
	v_add_nc_u16 v0, v1, v0
	s_delay_alu instid0(VALU_DEP_1) | instskip(NEXT) | instid1(VALU_DEP_1)
	v_lshrrev_b16 v48, 4, v0
	v_mul_lo_u16 v0, v48, 25
	s_delay_alu instid0(VALU_DEP_1) | instskip(NEXT) | instid1(VALU_DEP_1)
	v_sub_nc_u16 v49, v57, v0
	v_lshlrev_b16 v0, 6, v49
	s_delay_alu instid0(VALU_DEP_1) | instskip(NEXT) | instid1(VALU_DEP_1)
	v_and_b32_e32 v0, 0xffff, v0
	v_add_co_u32 v4, s18, s10, v0
	s_delay_alu instid0(VALU_DEP_1)
	v_add_co_ci_u32_e64 v5, null, s11, 0, s18
	ds_load_b128 v[0:3], v8 offset:16000
	global_load_b128 v[10:13], v[4:5], off offset:320
	s_waitcnt vmcnt(0) lgkmcnt(0)
	v_mul_f64 v[6:7], v[2:3], v[12:13]
	scratch_store_b128 off, v[10:13], off offset:944 ; 16-byte Folded Spill
	v_fma_f64 v[26:27], v[0:1], v[10:11], -v[6:7]
	v_mul_f64 v[0:1], v[0:1], v[12:13]
	s_delay_alu instid0(VALU_DEP_1)
	v_fma_f64 v[24:25], v[2:3], v[10:11], v[0:1]
	global_load_b128 v[10:13], v[4:5], off offset:336
	ds_load_b128 v[0:3], v8 offset:26000
	s_waitcnt vmcnt(0) lgkmcnt(0)
	v_mul_f64 v[6:7], v[2:3], v[12:13]
	scratch_store_b128 off, v[10:13], off offset:960 ; 16-byte Folded Spill
	v_fma_f64 v[34:35], v[0:1], v[10:11], -v[6:7]
	v_mul_f64 v[0:1], v[0:1], v[12:13]
	s_delay_alu instid0(VALU_DEP_1)
	v_fma_f64 v[28:29], v[2:3], v[10:11], v[0:1]
	global_load_b128 v[10:13], v[4:5], off offset:352
	ds_load_b128 v[0:3], v8 offset:36000
	s_waitcnt vmcnt(0) lgkmcnt(0)
	v_mul_f64 v[6:7], v[2:3], v[12:13]
	scratch_store_b128 off, v[10:13], off offset:976 ; 16-byte Folded Spill
	v_fma_f64 v[32:33], v[0:1], v[10:11], -v[6:7]
	v_mul_f64 v[0:1], v[0:1], v[12:13]
	s_delay_alu instid0(VALU_DEP_2) | instskip(NEXT) | instid1(VALU_DEP_2)
	v_add_f64 v[139:140], v[34:35], -v[32:33]
	v_fma_f64 v[30:31], v[2:3], v[10:11], v[0:1]
	global_load_b128 v[10:13], v[4:5], off offset:368
	ds_load_b128 v[0:3], v8 offset:46000
	s_waitcnt vmcnt(0) lgkmcnt(0)
	v_mul_f64 v[4:5], v[2:3], v[12:13]
	s_delay_alu instid0(VALU_DEP_1) | instskip(SKIP_1) | instid1(VALU_DEP_2)
	v_fma_f64 v[36:37], v[0:1], v[10:11], -v[4:5]
	v_mul_f64 v[0:1], v[0:1], v[12:13]
	v_add_f64 v[137:138], v[26:27], -v[36:37]
	s_delay_alu instid0(VALU_DEP_2) | instskip(SKIP_1) | instid1(VALU_DEP_1)
	v_fma_f64 v[38:39], v[2:3], v[10:11], v[0:1]
	v_mul_u32_u24_e32 v0, 0x47af, v9
	v_lshrrev_b32_e32 v0, 16, v0
	s_delay_alu instid0(VALU_DEP_1) | instskip(NEXT) | instid1(VALU_DEP_1)
	v_sub_nc_u16 v1, v56, v0
	v_lshrrev_b16 v1, 1, v1
	s_delay_alu instid0(VALU_DEP_1) | instskip(NEXT) | instid1(VALU_DEP_1)
	v_add_nc_u16 v0, v1, v0
	v_lshrrev_b16 v50, 4, v0
	s_delay_alu instid0(VALU_DEP_1) | instskip(NEXT) | instid1(VALU_DEP_1)
	v_mul_lo_u16 v0, v50, 25
	v_sub_nc_u16 v51, v56, v0
	s_delay_alu instid0(VALU_DEP_1) | instskip(NEXT) | instid1(VALU_DEP_1)
	v_lshlrev_b16 v0, 6, v51
	v_and_b32_e32 v0, 0xffff, v0
	s_delay_alu instid0(VALU_DEP_1) | instskip(NEXT) | instid1(VALU_DEP_1)
	v_add_co_u32 v4, s18, s10, v0
	v_add_co_ci_u32_e64 v5, null, s11, 0, s18
	ds_load_b128 v[0:3], v8 offset:18000
	s_clause 0x1
	global_load_b128 v[20:23], v[4:5], off offset:352
	global_load_b128 v[52:55], v[4:5], off offset:368
	scratch_store_b128 off, v[10:13], off offset:992 ; 16-byte Folded Spill
	global_load_b128 v[12:15], v[4:5], off offset:320
	s_waitcnt vmcnt(2)
	scratch_store_b128 off, v[20:23], off offset:1160 ; 16-byte Folded Spill
	s_waitcnt vmcnt(1)
	scratch_store_b128 off, v[52:55], off offset:1176 ; 16-byte Folded Spill
	s_waitcnt vmcnt(0) lgkmcnt(0)
	v_mul_f64 v[6:7], v[2:3], v[14:15]
	scratch_store_b128 off, v[12:15], off offset:1096 ; 16-byte Folded Spill
	v_fma_f64 v[10:11], v[0:1], v[12:13], -v[6:7]
	v_mul_f64 v[0:1], v[0:1], v[14:15]
	s_delay_alu instid0(VALU_DEP_1)
	v_fma_f64 v[40:41], v[2:3], v[12:13], v[0:1]
	global_load_b128 v[12:15], v[4:5], off offset:336
	ds_load_b128 v[0:3], v8 offset:28000
	s_waitcnt vmcnt(0) lgkmcnt(0)
	v_mul_f64 v[6:7], v[2:3], v[14:15]
	scratch_store_b128 off, v[12:15], off offset:1144 ; 16-byte Folded Spill
	v_fma_f64 v[18:19], v[0:1], v[12:13], -v[6:7]
	v_mul_f64 v[0:1], v[0:1], v[14:15]
	s_delay_alu instid0(VALU_DEP_1) | instskip(SKIP_3) | instid1(VALU_DEP_1)
	v_fma_f64 v[12:13], v[2:3], v[12:13], v[0:1]
	ds_load_b128 v[0:3], v8 offset:38000
	s_waitcnt lgkmcnt(0)
	v_mul_f64 v[6:7], v[2:3], v[22:23]
	v_fma_f64 v[16:17], v[0:1], v[20:21], -v[6:7]
	v_mul_f64 v[0:1], v[0:1], v[22:23]
	s_delay_alu instid0(VALU_DEP_2) | instskip(NEXT) | instid1(VALU_DEP_2)
	v_add_f64 v[144:145], v[18:19], -v[16:17]
	v_fma_f64 v[14:15], v[2:3], v[20:21], v[0:1]
	ds_load_b128 v[0:3], v8 offset:48000
	s_waitcnt lgkmcnt(0)
	v_mul_f64 v[4:5], v[2:3], v[54:55]
	s_delay_alu instid0(VALU_DEP_1) | instskip(SKIP_2) | instid1(VALU_DEP_3)
	v_fma_f64 v[20:21], v[0:1], v[52:53], -v[4:5]
	v_mul_f64 v[0:1], v[0:1], v[54:55]
	v_add_f64 v[4:5], v[77:78], -v[73:74]
	v_add_f64 v[142:143], v[10:11], -v[20:21]
	s_delay_alu instid0(VALU_DEP_3)
	v_fma_f64 v[22:23], v[2:3], v[52:53], v[0:1]
	v_add_f64 v[0:1], v[62:63], -v[67:68]
	v_add_f64 v[2:3], v[75:76], -v[71:72]
	ds_load_b128 v[52:55], v8
	v_add_f64 v[0:1], v[0:1], v[2:3]
	v_add_f64 v[2:3], v[65:66], -v[69:70]
	s_delay_alu instid0(VALU_DEP_1) | instskip(SKIP_2) | instid1(VALU_DEP_1)
	v_add_f64 v[2:3], v[2:3], v[4:5]
	v_add_f64 v[4:5], v[67:68], v[71:72]
	s_waitcnt lgkmcnt(0)
	v_fma_f64 v[79:80], v[4:5], -0.5, v[52:53]
	v_add_f64 v[4:5], v[69:70], v[73:74]
	s_delay_alu instid0(VALU_DEP_1) | instskip(NEXT) | instid1(VALU_DEP_3)
	v_fma_f64 v[81:82], v[4:5], -0.5, v[54:55]
	v_fma_f64 v[4:5], v[83:84], s[14:15], v[79:80]
	v_fma_f64 v[79:80], v[83:84], s[16:17], v[79:80]
	s_delay_alu instid0(VALU_DEP_3) | instskip(SKIP_1) | instid1(VALU_DEP_4)
	v_fma_f64 v[6:7], v[87:88], s[16:17], v[81:82]
	v_fma_f64 v[81:82], v[87:88], s[14:15], v[81:82]
	v_fma_f64 v[4:5], v[85:86], s[2:3], v[4:5]
	s_delay_alu instid0(VALU_DEP_4) | instskip(NEXT) | instid1(VALU_DEP_4)
	v_fma_f64 v[79:80], v[85:86], s[8:9], v[79:80]
	v_fma_f64 v[6:7], v[89:90], s[8:9], v[6:7]
	s_delay_alu instid0(VALU_DEP_4) | instskip(NEXT) | instid1(VALU_DEP_4)
	v_fma_f64 v[81:82], v[89:90], s[2:3], v[81:82]
	v_fma_f64 v[4:5], v[0:1], s[12:13], v[4:5]
	s_delay_alu instid0(VALU_DEP_4) | instskip(SKIP_4) | instid1(VALU_DEP_4)
	v_fma_f64 v[0:1], v[0:1], s[12:13], v[79:80]
	v_add_f64 v[79:80], v[62:63], v[75:76]
	v_fma_f64 v[6:7], v[2:3], s[12:13], v[6:7]
	v_fma_f64 v[2:3], v[2:3], s[12:13], v[81:82]
	v_add_f64 v[81:82], v[65:66], v[77:78]
	v_fma_f64 v[79:80], v[79:80], -0.5, v[52:53]
	v_add_f64 v[52:53], v[52:53], v[62:63]
	v_add_f64 v[62:63], v[67:68], -v[62:63]
	s_delay_alu instid0(VALU_DEP_4) | instskip(SKIP_4) | instid1(VALU_DEP_4)
	v_fma_f64 v[81:82], v[81:82], -0.5, v[54:55]
	v_add_f64 v[54:55], v[54:55], v[65:66]
	v_add_f64 v[64:65], v[69:70], -v[65:66]
	v_add_f64 v[52:53], v[52:53], v[67:68]
	v_add_f64 v[66:67], v[71:72], -v[75:76]
	;; [unrolled: 2-line block ×3, first 2 shown]
	s_delay_alu instid0(VALU_DEP_4)
	v_add_f64 v[52:53], v[52:53], v[71:72]
	v_fma_f64 v[70:71], v[85:86], s[16:17], v[79:80]
	v_add_f64 v[62:63], v[62:63], v[66:67]
	v_add_f64 v[54:55], v[54:55], v[73:74]
	v_fma_f64 v[72:73], v[85:86], s[14:15], v[79:80]
	v_add_f64 v[52:53], v[52:53], v[75:76]
	v_fma_f64 v[74:75], v[89:90], s[14:15], v[81:82]
	s_delay_alu instid0(VALU_DEP_4)
	v_add_f64 v[54:55], v[54:55], v[77:78]
	v_add_f64 v[78:79], v[64:65], v[68:69]
	v_fma_f64 v[64:65], v[83:84], s[2:3], v[70:71]
	v_fma_f64 v[68:69], v[83:84], s[8:9], v[72:73]
	v_add_f64 v[72:73], v[103:104], -v[99:100]
	v_fma_f64 v[76:77], v[89:90], s[16:17], v[81:82]
	v_fma_f64 v[66:67], v[87:88], s[8:9], v[74:75]
	v_add_f64 v[74:75], v[105:106], -v[101:102]
	v_fma_f64 v[64:65], v[62:63], s[12:13], v[64:65]
	v_fma_f64 v[68:69], v[62:63], s[12:13], v[68:69]
	v_add_f64 v[62:63], v[91:92], -v[95:96]
	v_fma_f64 v[70:71], v[87:88], s[2:3], v[76:77]
	v_add_f64 v[76:77], v[97:98], v[101:102]
	v_fma_f64 v[66:67], v[78:79], s[12:13], v[66:67]
	s_delay_alu instid0(VALU_DEP_4)
	v_add_f64 v[62:63], v[62:63], v[72:73]
	v_add_f64 v[72:73], v[93:94], -v[97:98]
	v_fma_f64 v[70:71], v[78:79], s[12:13], v[70:71]
	ds_load_b128 v[79:82], v8 offset:2000
	s_waitcnt lgkmcnt(0)
	v_fma_f64 v[76:77], v[76:77], -0.5, v[81:82]
	v_add_f64 v[72:73], v[72:73], v[74:75]
	v_add_f64 v[74:75], v[95:96], v[99:100]
	s_delay_alu instid0(VALU_DEP_3) | instskip(SKIP_1) | instid1(VALU_DEP_3)
	v_fma_f64 v[85:86], v[127:128], s[16:17], v[76:77]
	v_fma_f64 v[76:77], v[127:128], s[14:15], v[76:77]
	v_fma_f64 v[74:75], v[74:75], -0.5, v[79:80]
	s_delay_alu instid0(VALU_DEP_3) | instskip(NEXT) | instid1(VALU_DEP_3)
	v_fma_f64 v[85:86], v[129:130], s[8:9], v[85:86]
	v_fma_f64 v[76:77], v[129:130], s[2:3], v[76:77]
	s_delay_alu instid0(VALU_DEP_3) | instskip(SKIP_1) | instid1(VALU_DEP_4)
	v_fma_f64 v[83:84], v[107:108], s[14:15], v[74:75]
	v_fma_f64 v[74:75], v[107:108], s[16:17], v[74:75]
	;; [unrolled: 1-line block ×3, first 2 shown]
	s_delay_alu instid0(VALU_DEP_4)
	v_fma_f64 v[89:90], v[72:73], s[12:13], v[76:77]
	v_add_f64 v[76:77], v[81:82], v[93:94]
	v_add_f64 v[72:73], v[93:94], v[105:106]
	v_add_f64 v[93:94], v[97:98], -v[93:94]
	v_fma_f64 v[83:84], v[109:110], s[2:3], v[83:84]
	v_fma_f64 v[74:75], v[109:110], s[8:9], v[74:75]
	v_add_f64 v[76:77], v[76:77], v[97:98]
	v_fma_f64 v[72:73], v[72:73], -0.5, v[81:82]
	s_delay_alu instid0(VALU_DEP_4) | instskip(NEXT) | instid1(VALU_DEP_4)
	v_fma_f64 v[83:84], v[62:63], s[12:13], v[83:84]
	v_fma_f64 v[87:88], v[62:63], s[12:13], v[74:75]
	v_add_f64 v[74:75], v[79:80], v[91:92]
	v_add_f64 v[62:63], v[91:92], v[103:104]
	v_add_f64 v[91:92], v[95:96], -v[91:92]
	v_add_f64 v[76:77], v[76:77], v[101:102]
	v_fma_f64 v[97:98], v[129:130], s[14:15], v[72:73]
	v_fma_f64 v[72:73], v[129:130], s[16:17], v[72:73]
	v_add_f64 v[129:130], v[117:118], -v[121:122]
	v_add_f64 v[74:75], v[74:75], v[95:96]
	v_fma_f64 v[62:63], v[62:63], -0.5, v[79:80]
	v_add_f64 v[95:96], v[99:100], -v[103:104]
	v_add_f64 v[81:82], v[76:77], v[105:106]
	v_fma_f64 v[72:73], v[127:128], s[2:3], v[72:73]
	v_add_f64 v[74:75], v[74:75], v[99:100]
	v_fma_f64 v[76:77], v[109:110], s[16:17], v[62:63]
	v_fma_f64 v[62:63], v[109:110], s[14:15], v[62:63]
	v_add_f64 v[95:96], v[91:92], v[95:96]
	s_delay_alu instid0(VALU_DEP_4)
	v_add_f64 v[79:80], v[74:75], v[103:104]
	v_add_f64 v[74:75], v[101:102], -v[105:106]
	v_fma_f64 v[76:77], v[107:108], s[2:3], v[76:77]
	v_fma_f64 v[62:63], v[107:108], s[8:9], v[62:63]
	ds_load_b128 v[99:102], v8 offset:4000
	v_add_f64 v[74:75], v[93:94], v[74:75]
	v_fma_f64 v[93:94], v[127:128], s[8:9], v[97:98]
	v_fma_f64 v[91:92], v[95:96], s[12:13], v[76:77]
	;; [unrolled: 1-line block ×3, first 2 shown]
	v_add_f64 v[62:63], v[111:112], -v[115:116]
	v_add_f64 v[76:77], v[117:118], v[121:122]
	v_add_f64 v[127:128], v[113:114], -v[125:126]
	v_fma_f64 v[97:98], v[74:75], s[12:13], v[72:73]
	v_add_f64 v[72:73], v[123:124], -v[119:120]
	v_fma_f64 v[93:94], v[74:75], s[12:13], v[93:94]
	v_add_f64 v[74:75], v[125:126], -v[121:122]
	s_waitcnt lgkmcnt(0)
	v_fma_f64 v[76:77], v[76:77], -0.5, v[101:102]
	s_delay_alu instid0(VALU_DEP_4) | instskip(SKIP_1) | instid1(VALU_DEP_3)
	v_add_f64 v[62:63], v[62:63], v[72:73]
	v_add_f64 v[72:73], v[113:114], -v[117:118]
	v_fma_f64 v[105:106], v[131:132], s[16:17], v[76:77]
	v_fma_f64 v[76:77], v[131:132], s[14:15], v[76:77]
	s_delay_alu instid0(VALU_DEP_3) | instskip(SKIP_1) | instid1(VALU_DEP_4)
	v_add_f64 v[72:73], v[72:73], v[74:75]
	v_add_f64 v[74:75], v[115:116], v[119:120]
	v_fma_f64 v[105:106], v[133:134], s[8:9], v[105:106]
	s_delay_alu instid0(VALU_DEP_4) | instskip(NEXT) | instid1(VALU_DEP_3)
	v_fma_f64 v[76:77], v[133:134], s[2:3], v[76:77]
	v_fma_f64 v[74:75], v[74:75], -0.5, v[99:100]
	s_delay_alu instid0(VALU_DEP_3) | instskip(NEXT) | instid1(VALU_DEP_3)
	v_fma_f64 v[105:106], v[72:73], s[12:13], v[105:106]
	v_fma_f64 v[109:110], v[72:73], s[12:13], v[76:77]
	v_add_f64 v[76:77], v[101:102], v[113:114]
	v_add_f64 v[72:73], v[113:114], v[125:126]
	v_add_f64 v[113:114], v[117:118], -v[113:114]
	v_fma_f64 v[103:104], v[127:128], s[14:15], v[74:75]
	v_fma_f64 v[74:75], v[127:128], s[16:17], v[74:75]
	v_add_f64 v[76:77], v[76:77], v[117:118]
	v_fma_f64 v[72:73], v[72:73], -0.5, v[101:102]
	s_delay_alu instid0(VALU_DEP_4) | instskip(NEXT) | instid1(VALU_DEP_4)
	v_fma_f64 v[103:104], v[129:130], s[2:3], v[103:104]
	v_fma_f64 v[74:75], v[129:130], s[8:9], v[74:75]
	s_delay_alu instid0(VALU_DEP_4) | instskip(NEXT) | instid1(VALU_DEP_4)
	v_add_f64 v[76:77], v[76:77], v[121:122]
	v_fma_f64 v[117:118], v[133:134], s[14:15], v[72:73]
	v_fma_f64 v[72:73], v[133:134], s[16:17], v[72:73]
	v_add_f64 v[133:134], v[28:29], -v[30:31]
	v_fma_f64 v[103:104], v[62:63], s[12:13], v[103:104]
	v_fma_f64 v[107:108], v[62:63], s[12:13], v[74:75]
	v_add_f64 v[74:75], v[99:100], v[111:112]
	v_add_f64 v[62:63], v[111:112], v[123:124]
	v_add_f64 v[111:112], v[115:116], -v[111:112]
	v_add_f64 v[101:102], v[76:77], v[125:126]
	v_fma_f64 v[72:73], v[131:132], s[2:3], v[72:73]
	v_add_f64 v[74:75], v[74:75], v[115:116]
	v_fma_f64 v[62:63], v[62:63], -0.5, v[99:100]
	v_add_f64 v[115:116], v[119:120], -v[123:124]
	s_delay_alu instid0(VALU_DEP_3) | instskip(NEXT) | instid1(VALU_DEP_3)
	v_add_f64 v[74:75], v[74:75], v[119:120]
	v_fma_f64 v[76:77], v[129:130], s[16:17], v[62:63]
	v_fma_f64 v[62:63], v[129:130], s[14:15], v[62:63]
	s_delay_alu instid0(VALU_DEP_4) | instskip(NEXT) | instid1(VALU_DEP_4)
	v_add_f64 v[115:116], v[111:112], v[115:116]
	v_add_f64 v[99:100], v[74:75], v[123:124]
	v_add_f64 v[74:75], v[121:122], -v[125:126]
	v_fma_f64 v[76:77], v[127:128], s[2:3], v[76:77]
	v_fma_f64 v[62:63], v[127:128], s[8:9], v[62:63]
	ds_load_b128 v[119:122], v8 offset:6000
	v_add_f64 v[74:75], v[113:114], v[74:75]
	v_fma_f64 v[113:114], v[131:132], s[8:9], v[117:118]
	v_fma_f64 v[111:112], v[115:116], s[12:13], v[76:77]
	;; [unrolled: 1-line block ×3, first 2 shown]
	v_add_f64 v[62:63], v[26:27], -v[34:35]
	v_add_f64 v[76:77], v[28:29], v[30:31]
	v_add_f64 v[131:132], v[24:25], -v[38:39]
	v_fma_f64 v[117:118], v[74:75], s[12:13], v[72:73]
	v_add_f64 v[72:73], v[36:37], -v[32:33]
	v_fma_f64 v[113:114], v[74:75], s[12:13], v[113:114]
	v_add_f64 v[74:75], v[38:39], -v[30:31]
	s_waitcnt lgkmcnt(0)
	v_fma_f64 v[76:77], v[76:77], -0.5, v[121:122]
	s_delay_alu instid0(VALU_DEP_4) | instskip(SKIP_1) | instid1(VALU_DEP_3)
	v_add_f64 v[62:63], v[62:63], v[72:73]
	v_add_f64 v[72:73], v[24:25], -v[28:29]
	v_fma_f64 v[125:126], v[137:138], s[16:17], v[76:77]
	v_fma_f64 v[76:77], v[137:138], s[14:15], v[76:77]
	s_delay_alu instid0(VALU_DEP_3) | instskip(SKIP_1) | instid1(VALU_DEP_4)
	v_add_f64 v[72:73], v[72:73], v[74:75]
	v_add_f64 v[74:75], v[34:35], v[32:33]
	v_fma_f64 v[125:126], v[139:140], s[8:9], v[125:126]
	s_delay_alu instid0(VALU_DEP_4) | instskip(NEXT) | instid1(VALU_DEP_3)
	v_fma_f64 v[76:77], v[139:140], s[2:3], v[76:77]
	v_fma_f64 v[74:75], v[74:75], -0.5, v[119:120]
	s_delay_alu instid0(VALU_DEP_3) | instskip(NEXT) | instid1(VALU_DEP_3)
	v_fma_f64 v[125:126], v[72:73], s[12:13], v[125:126]
	v_fma_f64 v[129:130], v[72:73], s[12:13], v[76:77]
	v_add_f64 v[72:73], v[24:25], v[38:39]
	v_add_f64 v[76:77], v[121:122], v[24:25]
	v_fma_f64 v[123:124], v[131:132], s[14:15], v[74:75]
	v_fma_f64 v[74:75], v[131:132], s[16:17], v[74:75]
	s_delay_alu instid0(VALU_DEP_4) | instskip(NEXT) | instid1(VALU_DEP_3)
	v_fma_f64 v[72:73], v[72:73], -0.5, v[121:122]
	v_fma_f64 v[123:124], v[133:134], s[2:3], v[123:124]
	s_delay_alu instid0(VALU_DEP_3) | instskip(NEXT) | instid1(VALU_DEP_2)
	v_fma_f64 v[74:75], v[133:134], s[8:9], v[74:75]
	v_fma_f64 v[123:124], v[62:63], s[12:13], v[123:124]
	s_delay_alu instid0(VALU_DEP_2) | instskip(SKIP_2) | instid1(VALU_DEP_2)
	v_fma_f64 v[127:128], v[62:63], s[12:13], v[74:75]
	v_add_f64 v[62:63], v[26:27], v[36:37]
	v_add_f64 v[74:75], v[119:120], v[26:27]
	v_fma_f64 v[62:63], v[62:63], -0.5, v[119:120]
	v_add_f64 v[119:120], v[34:35], -v[26:27]
	s_delay_alu instid0(VALU_DEP_3)
	v_add_f64 v[26:27], v[74:75], v[34:35]
	v_add_f64 v[34:35], v[76:77], v[28:29]
	v_add_f64 v[28:29], v[28:29], -v[24:25]
	v_add_f64 v[74:75], v[18:19], v[16:17]
	v_add_f64 v[76:77], v[12:13], v[14:15]
	;; [unrolled: 1-line block ×4, first 2 shown]
	v_add_f64 v[32:33], v[32:33], -v[36:37]
	v_add_f64 v[30:31], v[30:31], -v[38:39]
	v_fma_f64 v[34:35], v[133:134], s[16:17], v[62:63]
	v_add_f64 v[24:25], v[24:25], v[36:37]
	v_fma_f64 v[36:37], v[133:134], s[14:15], v[62:63]
	v_fma_f64 v[62:63], v[139:140], s[16:17], v[72:73]
	v_add_f64 v[26:27], v[26:27], v[38:39]
	v_fma_f64 v[38:39], v[139:140], s[14:15], v[72:73]
	v_add_f64 v[32:33], v[119:120], v[32:33]
	v_add_f64 v[72:73], v[28:29], v[30:31]
	v_fma_f64 v[28:29], v[131:132], s[2:3], v[34:35]
	v_add_f64 v[139:140], v[12:13], -v[14:15]
	v_fma_f64 v[34:35], v[131:132], s[8:9], v[36:37]
	v_fma_f64 v[36:37], v[137:138], s[2:3], v[62:63]
	;; [unrolled: 1-line block ×3, first 2 shown]
	v_add_f64 v[38:39], v[20:21], -v[16:17]
	v_add_f64 v[137:138], v[40:41], -v[22:23]
	v_fma_f64 v[28:29], v[32:33], s[12:13], v[28:29]
	v_fma_f64 v[32:33], v[32:33], s[12:13], v[34:35]
	;; [unrolled: 1-line block ×3, first 2 shown]
	v_add_f64 v[36:37], v[10:11], -v[18:19]
	v_fma_f64 v[30:31], v[72:73], s[12:13], v[30:31]
	s_delay_alu instid0(VALU_DEP_2) | instskip(SKIP_2) | instid1(VALU_DEP_1)
	v_add_f64 v[62:63], v[36:37], v[38:39]
	v_add_f64 v[36:37], v[40:41], -v[12:13]
	v_add_f64 v[38:39], v[22:23], -v[14:15]
	v_add_f64 v[72:73], v[36:37], v[38:39]
	ds_load_b128 v[36:39], v8 offset:8000
	s_waitcnt lgkmcnt(0)
	v_fma_f64 v[74:75], v[74:75], -0.5, v[36:37]
	v_fma_f64 v[76:77], v[76:77], -0.5, v[38:39]
	s_delay_alu instid0(VALU_DEP_2) | instskip(NEXT) | instid1(VALU_DEP_2)
	v_fma_f64 v[119:120], v[137:138], s[14:15], v[74:75]
	v_fma_f64 v[121:122], v[142:143], s[16:17], v[76:77]
	;; [unrolled: 1-line block ×4, first 2 shown]
	s_delay_alu instid0(VALU_DEP_4) | instskip(NEXT) | instid1(VALU_DEP_4)
	v_fma_f64 v[119:120], v[139:140], s[2:3], v[119:120]
	v_fma_f64 v[121:122], v[144:145], s[8:9], v[121:122]
	s_delay_alu instid0(VALU_DEP_4) | instskip(NEXT) | instid1(VALU_DEP_4)
	v_fma_f64 v[74:75], v[139:140], s[8:9], v[74:75]
	v_fma_f64 v[76:77], v[144:145], s[2:3], v[76:77]
	;; [unrolled: 3-line block ×4, first 2 shown]
	v_add_f64 v[62:63], v[10:11], v[20:21]
	v_add_f64 v[72:73], v[40:41], v[22:23]
	v_add_f64 v[74:75], v[18:19], -v[10:11]
	s_delay_alu instid0(VALU_DEP_3) | instskip(NEXT) | instid1(VALU_DEP_3)
	v_fma_f64 v[62:63], v[62:63], -0.5, v[36:37]
	v_fma_f64 v[72:73], v[72:73], -0.5, v[38:39]
	v_add_f64 v[36:37], v[36:37], v[10:11]
	v_add_f64 v[38:39], v[38:39], v[40:41]
	s_delay_alu instid0(VALU_DEP_2) | instskip(NEXT) | instid1(VALU_DEP_2)
	v_add_f64 v[10:11], v[36:37], v[18:19]
	v_add_f64 v[18:19], v[38:39], v[12:13]
	v_add_f64 v[36:37], v[12:13], -v[40:41]
	v_fma_f64 v[38:39], v[144:145], s[16:17], v[72:73]
	s_delay_alu instid0(VALU_DEP_4) | instskip(NEXT) | instid1(VALU_DEP_4)
	v_add_f64 v[10:11], v[10:11], v[16:17]
	v_add_f64 v[12:13], v[18:19], v[14:15]
	v_add_f64 v[16:17], v[16:17], -v[20:21]
	v_add_f64 v[14:15], v[14:15], -v[22:23]
	v_fma_f64 v[18:19], v[139:140], s[16:17], v[62:63]
	v_add_f64 v[10:11], v[10:11], v[20:21]
	v_add_f64 v[12:13], v[12:13], v[22:23]
	v_fma_f64 v[22:23], v[144:145], s[14:15], v[72:73]
	v_fma_f64 v[20:21], v[139:140], s[14:15], v[62:63]
	v_add_f64 v[40:41], v[74:75], v[16:17]
	v_add_f64 v[36:37], v[36:37], v[14:15]
	v_fma_f64 v[14:15], v[137:138], s[2:3], v[18:19]
	v_fma_f64 v[16:17], v[142:143], s[8:9], v[22:23]
	v_and_b32_e32 v22, 0xffff, v42
	v_fma_f64 v[18:19], v[137:138], s[8:9], v[20:21]
	v_fma_f64 v[20:21], v[142:143], s[2:3], v[38:39]
	;; [unrolled: 1-line block ×3, first 2 shown]
	v_lshlrev_b32_e32 v42, 6, v223
	v_mul_u32_u24_e32 v22, 0x7d, v22
	s_delay_alu instid0(VALU_DEP_1)
	v_add_lshl_u32 v22, v22, v43, 4
	scratch_store_b32 off, v22, off offset:1520 ; 4-byte Folded Spill
	s_waitcnt_vscnt null, 0x0
	s_barrier
	buffer_gl0_inv
	ds_store_b128 v22, v[52:55]
	ds_store_b128 v22, v[4:7] offset:400
	ds_store_b128 v22, v[64:67] offset:800
	;; [unrolled: 1-line block ×4, first 2 shown]
	v_and_b32_e32 v0, 0xffff, v44
	s_delay_alu instid0(VALU_DEP_1) | instskip(NEXT) | instid1(VALU_DEP_1)
	v_mul_u32_u24_e32 v0, 0x7d, v0
	v_add_lshl_u32 v0, v0, v45, 4
	scratch_store_b32 off, v0, off offset:1512 ; 4-byte Folded Spill
	ds_store_b128 v0, v[79:82]
	ds_store_b128 v0, v[83:86] offset:400
	ds_store_b128 v0, v[91:94] offset:800
	;; [unrolled: 1-line block ×4, first 2 shown]
	v_mad_u16 v0, 0x7d, v46, v47
	v_fma_f64 v[16:17], v[36:37], s[12:13], v[16:17]
	v_fma_f64 v[18:19], v[40:41], s[12:13], v[18:19]
	;; [unrolled: 1-line block ×3, first 2 shown]
	s_delay_alu instid0(VALU_DEP_4) | instskip(NEXT) | instid1(VALU_DEP_1)
	v_and_b32_e32 v0, 0xffff, v0
	v_lshlrev_b32_e32 v0, 4, v0
	scratch_store_b32 off, v0, off offset:1424 ; 4-byte Folded Spill
	ds_store_b128 v0, v[99:102]
	ds_store_b128 v0, v[103:106] offset:400
	ds_store_b128 v0, v[111:114] offset:800
	ds_store_b128 v0, v[115:118] offset:1200
	ds_store_b128 v0, v[107:110] offset:1600
	v_mad_u16 v0, 0x7d, v48, v49
	s_delay_alu instid0(VALU_DEP_1) | instskip(NEXT) | instid1(VALU_DEP_1)
	v_and_b32_e32 v0, 0xffff, v0
	v_lshlrev_b32_e32 v0, 4, v0
	scratch_store_b32 off, v0, off offset:1224 ; 4-byte Folded Spill
	ds_store_b128 v0, v[24:27]
	ds_store_b128 v0, v[123:126] offset:400
	ds_store_b128 v0, v[28:31] offset:800
	;; [unrolled: 1-line block ×4, first 2 shown]
	v_mad_u16 v0, 0x7d, v50, v51
	s_delay_alu instid0(VALU_DEP_1) | instskip(NEXT) | instid1(VALU_DEP_1)
	v_and_b32_e32 v0, 0xffff, v0
	v_lshlrev_b32_e32 v0, 4, v0
	scratch_store_b32 off, v0, off offset:1008 ; 4-byte Folded Spill
	ds_store_b128 v0, v[10:13]
	ds_store_b128 v0, v[119:122] offset:400
	ds_store_b128 v0, v[14:17] offset:800
	;; [unrolled: 1-line block ×4, first 2 shown]
	s_waitcnt lgkmcnt(0)
	s_waitcnt_vscnt null, 0x0
	s_barrier
	buffer_gl0_inv
	s_clause 0x3
	global_load_b128 v[248:251], v42, s[10:11] offset:1920
	global_load_b128 v[126:129], v42, s[10:11] offset:1936
	;; [unrolled: 1-line block ×4, first 2 shown]
	ds_load_b128 v[0:3], v8 offset:10000
	ds_load_b128 v[185:188], v8 offset:6000
	ds_load_b128 v[46:49], v8
	ds_load_b128 v[148:151], v8 offset:4000
	s_waitcnt vmcnt(3) lgkmcnt(3)
	v_mul_f64 v[4:5], v[2:3], v[250:251]
	s_delay_alu instid0(VALU_DEP_1) | instskip(SKIP_1) | instid1(VALU_DEP_1)
	v_fma_f64 v[50:51], v[0:1], v[248:249], -v[4:5]
	v_mul_f64 v[0:1], v[0:1], v[250:251]
	v_fma_f64 v[52:53], v[2:3], v[248:249], v[0:1]
	ds_load_b128 v[0:3], v8 offset:20000
	s_waitcnt vmcnt(2) lgkmcnt(0)
	v_mul_f64 v[4:5], v[2:3], v[128:129]
	s_delay_alu instid0(VALU_DEP_1) | instskip(SKIP_1) | instid1(VALU_DEP_1)
	v_fma_f64 v[54:55], v[0:1], v[126:127], -v[4:5]
	v_mul_f64 v[0:1], v[0:1], v[128:129]
	v_fma_f64 v[62:63], v[2:3], v[126:127], v[0:1]
	ds_load_b128 v[0:3], v8 offset:30000
	s_waitcnt vmcnt(1) lgkmcnt(0)
	v_mul_f64 v[4:5], v[2:3], v[139:140]
	s_delay_alu instid0(VALU_DEP_1) | instskip(SKIP_1) | instid1(VALU_DEP_2)
	v_fma_f64 v[64:65], v[0:1], v[137:138], -v[4:5]
	v_mul_f64 v[0:1], v[0:1], v[139:140]
	v_add_f64 v[116:117], v[54:55], -v[64:65]
	s_delay_alu instid0(VALU_DEP_2) | instskip(SKIP_4) | instid1(VALU_DEP_2)
	v_fma_f64 v[66:67], v[2:3], v[137:138], v[0:1]
	ds_load_b128 v[0:3], v8 offset:40000
	s_waitcnt vmcnt(0) lgkmcnt(0)
	v_mul_f64 v[4:5], v[2:3], v[254:255]
	v_add_f64 v[108:109], v[62:63], -v[66:67]
	v_fma_f64 v[68:69], v[0:1], v[252:253], -v[4:5]
	v_mul_f64 v[0:1], v[0:1], v[254:255]
	s_delay_alu instid0(VALU_DEP_2) | instskip(NEXT) | instid1(VALU_DEP_2)
	v_add_f64 v[114:115], v[50:51], -v[68:69]
	v_fma_f64 v[70:71], v[2:3], v[252:253], v[0:1]
	ds_load_b128 v[0:3], v8 offset:12000
	s_waitcnt lgkmcnt(0)
	v_mul_f64 v[4:5], v[2:3], v[250:251]
	v_add_f64 v[106:107], v[52:53], -v[70:71]
	s_delay_alu instid0(VALU_DEP_2) | instskip(SKIP_1) | instid1(VALU_DEP_1)
	v_fma_f64 v[72:73], v[0:1], v[248:249], -v[4:5]
	v_mul_f64 v[0:1], v[0:1], v[250:251]
	v_fma_f64 v[74:75], v[2:3], v[248:249], v[0:1]
	ds_load_b128 v[0:3], v8 offset:22000
	s_waitcnt lgkmcnt(0)
	v_mul_f64 v[4:5], v[2:3], v[128:129]
	s_delay_alu instid0(VALU_DEP_1) | instskip(SKIP_1) | instid1(VALU_DEP_1)
	v_fma_f64 v[76:77], v[0:1], v[126:127], -v[4:5]
	v_mul_f64 v[0:1], v[0:1], v[128:129]
	v_fma_f64 v[78:79], v[2:3], v[126:127], v[0:1]
	ds_load_b128 v[0:3], v8 offset:32000
	s_waitcnt lgkmcnt(0)
	v_mul_f64 v[4:5], v[2:3], v[139:140]
	s_delay_alu instid0(VALU_DEP_1) | instskip(SKIP_1) | instid1(VALU_DEP_2)
	v_fma_f64 v[80:81], v[0:1], v[137:138], -v[4:5]
	v_mul_f64 v[0:1], v[0:1], v[139:140]
	v_add_f64 v[130:131], v[76:77], -v[80:81]
	s_delay_alu instid0(VALU_DEP_2) | instskip(SKIP_3) | instid1(VALU_DEP_1)
	v_fma_f64 v[82:83], v[2:3], v[137:138], v[0:1]
	ds_load_b128 v[0:3], v8 offset:42000
	s_waitcnt lgkmcnt(0)
	v_mul_f64 v[4:5], v[2:3], v[254:255]
	v_fma_f64 v[84:85], v[0:1], v[252:253], -v[4:5]
	v_mul_f64 v[0:1], v[0:1], v[254:255]
	s_delay_alu instid0(VALU_DEP_1) | instskip(SKIP_1) | instid1(VALU_DEP_1)
	v_fma_f64 v[86:87], v[2:3], v[252:253], v[0:1]
	v_mul_u32_u24_e32 v0, 0x625, v61
	v_lshrrev_b32_e32 v0, 16, v0
	s_delay_alu instid0(VALU_DEP_1) | instskip(NEXT) | instid1(VALU_DEP_1)
	v_sub_nc_u16 v1, v58, v0
	v_lshrrev_b16 v1, 1, v1
	s_delay_alu instid0(VALU_DEP_1) | instskip(NEXT) | instid1(VALU_DEP_1)
	v_add_nc_u16 v0, v1, v0
	v_lshrrev_b16 v0, 6, v0
	s_delay_alu instid0(VALU_DEP_1) | instskip(NEXT) | instid1(VALU_DEP_1)
	v_mul_lo_u16 v0, 0x7d, v0
	v_sub_nc_u16 v43, v58, v0
	s_delay_alu instid0(VALU_DEP_1) | instskip(NEXT) | instid1(VALU_DEP_1)
	v_lshlrev_b16 v0, 6, v43
	v_and_b32_e32 v0, 0xffff, v0
	s_delay_alu instid0(VALU_DEP_1) | instskip(NEXT) | instid1(VALU_DEP_1)
	v_add_co_u32 v4, s18, s10, v0
	v_add_co_ci_u32_e64 v5, null, s11, 0, s18
	ds_load_b128 v[0:3], v8 offset:14000
	global_load_b128 v[10:13], v[4:5], off offset:1920
	s_waitcnt vmcnt(0) lgkmcnt(0)
	v_mul_f64 v[6:7], v[2:3], v[12:13]
	scratch_store_b128 off, v[10:13], off offset:1276 ; 16-byte Folded Spill
	v_fma_f64 v[88:89], v[0:1], v[10:11], -v[6:7]
	v_mul_f64 v[0:1], v[0:1], v[12:13]
	s_delay_alu instid0(VALU_DEP_1)
	v_fma_f64 v[90:91], v[2:3], v[10:11], v[0:1]
	global_load_b128 v[10:13], v[4:5], off offset:1936
	ds_load_b128 v[0:3], v8 offset:24000
	s_waitcnt vmcnt(0) lgkmcnt(0)
	v_mul_f64 v[6:7], v[2:3], v[12:13]
	scratch_store_b128 off, v[10:13], off offset:1292 ; 16-byte Folded Spill
	v_fma_f64 v[92:93], v[0:1], v[10:11], -v[6:7]
	v_mul_f64 v[0:1], v[0:1], v[12:13]
	s_delay_alu instid0(VALU_DEP_1)
	v_fma_f64 v[94:95], v[2:3], v[10:11], v[0:1]
	global_load_b128 v[10:13], v[4:5], off offset:1952
	ds_load_b128 v[0:3], v8 offset:34000
	;; [unrolled: 9-line block ×3, first 2 shown]
	s_waitcnt vmcnt(0) lgkmcnt(0)
	v_mul_f64 v[4:5], v[2:3], v[12:13]
	scratch_store_b128 off, v[10:13], off offset:1324 ; 16-byte Folded Spill
	v_fma_f64 v[100:101], v[0:1], v[10:11], -v[4:5]
	v_mul_f64 v[0:1], v[0:1], v[12:13]
	s_delay_alu instid0(VALU_DEP_1) | instskip(SKIP_1) | instid1(VALU_DEP_1)
	v_fma_f64 v[102:103], v[2:3], v[10:11], v[0:1]
	v_mul_u32_u24_e32 v0, 0x625, v60
	v_lshrrev_b32_e32 v0, 16, v0
	s_delay_alu instid0(VALU_DEP_1) | instskip(NEXT) | instid1(VALU_DEP_1)
	v_sub_nc_u16 v1, v57, v0
	v_lshrrev_b16 v1, 1, v1
	s_delay_alu instid0(VALU_DEP_1) | instskip(NEXT) | instid1(VALU_DEP_1)
	v_add_nc_u16 v0, v1, v0
	v_lshrrev_b16 v0, 6, v0
	s_delay_alu instid0(VALU_DEP_1) | instskip(NEXT) | instid1(VALU_DEP_1)
	v_mul_lo_u16 v0, 0x7d, v0
	v_sub_nc_u16 v44, v57, v0
	s_delay_alu instid0(VALU_DEP_1) | instskip(NEXT) | instid1(VALU_DEP_1)
	v_lshlrev_b16 v0, 6, v44
	v_and_b32_e32 v0, 0xffff, v0
	s_delay_alu instid0(VALU_DEP_1) | instskip(NEXT) | instid1(VALU_DEP_1)
	v_add_co_u32 v4, s18, s10, v0
	v_add_co_ci_u32_e64 v5, null, s11, 0, s18
	ds_load_b128 v[0:3], v8 offset:16000
	s_clause 0x2
	global_load_b128 v[10:13], v[4:5], off offset:1920
	global_load_b128 v[238:241], v[4:5], off offset:1952
	;; [unrolled: 1-line block ×3, first 2 shown]
	s_waitcnt vmcnt(2) lgkmcnt(0)
	v_mul_f64 v[6:7], v[2:3], v[12:13]
	scratch_store_b128 off, v[10:13], off offset:1460 ; 16-byte Folded Spill
	v_fma_f64 v[26:27], v[0:1], v[10:11], -v[6:7]
	v_mul_f64 v[0:1], v[0:1], v[12:13]
	s_delay_alu instid0(VALU_DEP_1)
	v_fma_f64 v[24:25], v[2:3], v[10:11], v[0:1]
	global_load_b128 v[10:13], v[4:5], off offset:1936
	ds_load_b128 v[0:3], v8 offset:26000
	s_waitcnt vmcnt(0) lgkmcnt(0)
	v_mul_f64 v[6:7], v[2:3], v[12:13]
	scratch_store_b128 off, v[10:13], off offset:1492 ; 16-byte Folded Spill
	v_fma_f64 v[34:35], v[0:1], v[10:11], -v[6:7]
	v_mul_f64 v[0:1], v[0:1], v[12:13]
	s_delay_alu instid0(VALU_DEP_1) | instskip(SKIP_3) | instid1(VALU_DEP_1)
	v_fma_f64 v[28:29], v[2:3], v[10:11], v[0:1]
	ds_load_b128 v[0:3], v8 offset:36000
	s_waitcnt lgkmcnt(0)
	v_mul_f64 v[6:7], v[2:3], v[240:241]
	v_fma_f64 v[32:33], v[0:1], v[238:239], -v[6:7]
	v_mul_f64 v[0:1], v[0:1], v[240:241]
	s_delay_alu instid0(VALU_DEP_1) | instskip(SKIP_3) | instid1(VALU_DEP_1)
	v_fma_f64 v[30:31], v[2:3], v[238:239], v[0:1]
	ds_load_b128 v[0:3], v8 offset:46000
	s_waitcnt lgkmcnt(0)
	v_mul_f64 v[4:5], v[2:3], v[244:245]
	v_fma_f64 v[36:37], v[0:1], v[242:243], -v[4:5]
	v_mul_f64 v[0:1], v[0:1], v[244:245]
	s_delay_alu instid0(VALU_DEP_1) | instskip(SKIP_1) | instid1(VALU_DEP_1)
	v_fma_f64 v[38:39], v[2:3], v[242:243], v[0:1]
	v_mul_u32_u24_e32 v0, 0x625, v9
	v_lshrrev_b32_e32 v0, 16, v0
	s_delay_alu instid0(VALU_DEP_1) | instskip(NEXT) | instid1(VALU_DEP_1)
	v_sub_nc_u16 v1, v56, v0
	v_lshrrev_b16 v1, 1, v1
	s_delay_alu instid0(VALU_DEP_1) | instskip(NEXT) | instid1(VALU_DEP_1)
	v_add_nc_u16 v0, v1, v0
	v_lshrrev_b16 v0, 6, v0
	s_delay_alu instid0(VALU_DEP_1) | instskip(NEXT) | instid1(VALU_DEP_1)
	v_mul_lo_u16 v0, 0x7d, v0
	v_sub_nc_u16 v45, v56, v0
	s_delay_alu instid0(VALU_DEP_1) | instskip(NEXT) | instid1(VALU_DEP_1)
	v_lshlrev_b16 v0, 6, v45
	v_and_b32_e32 v0, 0xffff, v0
	s_delay_alu instid0(VALU_DEP_1) | instskip(NEXT) | instid1(VALU_DEP_1)
	v_add_co_u32 v4, s18, s10, v0
	v_add_co_ci_u32_e64 v5, null, s11, 0, s18
	ds_load_b128 v[0:3], v8 offset:18000
	s_clause 0x3
	global_load_b128 v[226:229], v[4:5], off offset:1952
	global_load_b128 v[234:237], v[4:5], off offset:1920
	;; [unrolled: 1-line block ×4, first 2 shown]
	s_waitcnt vmcnt(2) lgkmcnt(0)
	v_mul_f64 v[6:7], v[2:3], v[236:237]
	s_delay_alu instid0(VALU_DEP_1) | instskip(SKIP_1) | instid1(VALU_DEP_1)
	v_fma_f64 v[10:11], v[0:1], v[234:235], -v[6:7]
	v_mul_f64 v[0:1], v[0:1], v[236:237]
	v_fma_f64 v[40:41], v[2:3], v[234:235], v[0:1]
	ds_load_b128 v[0:3], v8 offset:28000
	s_waitcnt vmcnt(1) lgkmcnt(0)
	v_mul_f64 v[6:7], v[2:3], v[232:233]
	s_delay_alu instid0(VALU_DEP_1) | instskip(SKIP_1) | instid1(VALU_DEP_1)
	v_fma_f64 v[18:19], v[0:1], v[230:231], -v[6:7]
	v_mul_f64 v[0:1], v[0:1], v[232:233]
	v_fma_f64 v[12:13], v[2:3], v[230:231], v[0:1]
	ds_load_b128 v[0:3], v8 offset:38000
	s_waitcnt lgkmcnt(0)
	v_mul_f64 v[6:7], v[2:3], v[228:229]
	s_delay_alu instid0(VALU_DEP_1) | instskip(SKIP_1) | instid1(VALU_DEP_1)
	v_fma_f64 v[16:17], v[0:1], v[226:227], -v[6:7]
	v_mul_f64 v[0:1], v[0:1], v[228:229]
	v_fma_f64 v[14:15], v[2:3], v[226:227], v[0:1]
	ds_load_b128 v[0:3], v8 offset:48000
	s_waitcnt vmcnt(0) lgkmcnt(0)
	v_mul_f64 v[4:5], v[2:3], v[216:217]
	s_delay_alu instid0(VALU_DEP_1) | instskip(SKIP_1) | instid1(VALU_DEP_1)
	v_fma_f64 v[20:21], v[0:1], v[214:215], -v[4:5]
	v_mul_f64 v[0:1], v[0:1], v[216:217]
	v_fma_f64 v[22:23], v[2:3], v[214:215], v[0:1]
	v_add_f64 v[0:1], v[50:51], -v[54:55]
	v_add_f64 v[2:3], v[68:69], -v[64:65]
	s_delay_alu instid0(VALU_DEP_1) | instskip(SKIP_2) | instid1(VALU_DEP_1)
	v_add_f64 v[4:5], v[0:1], v[2:3]
	v_add_f64 v[0:1], v[52:53], -v[62:63]
	v_add_f64 v[2:3], v[70:71], -v[66:67]
	v_add_f64 v[6:7], v[0:1], v[2:3]
	v_add_f64 v[0:1], v[54:55], v[64:65]
	s_delay_alu instid0(VALU_DEP_1) | instskip(SKIP_1) | instid1(VALU_DEP_1)
	v_fma_f64 v[60:61], v[0:1], -0.5, v[46:47]
	v_add_f64 v[0:1], v[62:63], v[66:67]
	v_fma_f64 v[104:105], v[0:1], -0.5, v[48:49]
	s_delay_alu instid0(VALU_DEP_3) | instskip(SKIP_1) | instid1(VALU_DEP_3)
	v_fma_f64 v[0:1], v[106:107], s[14:15], v[60:61]
	v_fma_f64 v[60:61], v[106:107], s[16:17], v[60:61]
	;; [unrolled: 1-line block ×3, first 2 shown]
	s_delay_alu instid0(VALU_DEP_3) | instskip(SKIP_1) | instid1(VALU_DEP_4)
	v_fma_f64 v[0:1], v[108:109], s[2:3], v[0:1]
	v_fma_f64 v[104:105], v[114:115], s[14:15], v[104:105]
	;; [unrolled: 1-line block ×3, first 2 shown]
	s_delay_alu instid0(VALU_DEP_4) | instskip(NEXT) | instid1(VALU_DEP_4)
	v_fma_f64 v[2:3], v[116:117], s[8:9], v[2:3]
	v_fma_f64 v[0:1], v[4:5], s[12:13], v[0:1]
	s_delay_alu instid0(VALU_DEP_4) | instskip(NEXT) | instid1(VALU_DEP_4)
	v_fma_f64 v[104:105], v[116:117], s[2:3], v[104:105]
	v_fma_f64 v[4:5], v[4:5], s[12:13], v[60:61]
	v_add_f64 v[60:61], v[50:51], v[68:69]
	v_fma_f64 v[2:3], v[6:7], s[12:13], v[2:3]
	s_delay_alu instid0(VALU_DEP_4) | instskip(SKIP_1) | instid1(VALU_DEP_4)
	v_fma_f64 v[6:7], v[6:7], s[12:13], v[104:105]
	v_add_f64 v[104:105], v[52:53], v[70:71]
	v_fma_f64 v[60:61], v[60:61], -0.5, v[46:47]
	v_add_f64 v[46:47], v[46:47], v[50:51]
	v_add_f64 v[50:51], v[54:55], -v[50:51]
	s_delay_alu instid0(VALU_DEP_4) | instskip(SKIP_1) | instid1(VALU_DEP_4)
	v_fma_f64 v[104:105], v[104:105], -0.5, v[48:49]
	v_add_f64 v[48:49], v[48:49], v[52:53]
	v_add_f64 v[46:47], v[46:47], v[54:55]
	v_add_f64 v[54:55], v[64:65], -v[68:69]
	v_add_f64 v[52:53], v[62:63], -v[52:53]
	s_delay_alu instid0(VALU_DEP_4) | instskip(NEXT) | instid1(VALU_DEP_4)
	v_add_f64 v[48:49], v[48:49], v[62:63]
	v_add_f64 v[46:47], v[46:47], v[64:65]
	v_fma_f64 v[64:65], v[108:109], s[16:17], v[60:61]
	v_fma_f64 v[60:61], v[108:109], s[14:15], v[60:61]
	v_add_f64 v[62:63], v[66:67], -v[70:71]
	v_add_f64 v[54:55], v[50:51], v[54:55]
	v_add_f64 v[48:49], v[48:49], v[66:67]
	;; [unrolled: 1-line block ×3, first 2 shown]
	v_fma_f64 v[66:67], v[116:117], s[14:15], v[104:105]
	v_fma_f64 v[68:69], v[116:117], s[16:17], v[104:105]
	;; [unrolled: 1-line block ×4, first 2 shown]
	v_add_f64 v[62:63], v[52:53], v[62:63]
	v_add_f64 v[104:105], v[72:73], -v[84:85]
	v_add_f64 v[48:49], v[48:49], v[70:71]
	v_fma_f64 v[52:53], v[114:115], s[8:9], v[66:67]
	v_fma_f64 v[64:65], v[114:115], s[2:3], v[68:69]
	;; [unrolled: 1-line block ×4, first 2 shown]
	v_add_f64 v[54:55], v[72:73], -v[76:77]
	v_add_f64 v[60:61], v[84:85], -v[80:81]
	ds_load_b128 v[114:117], v8 offset:2000
	v_add_f64 v[66:67], v[74:75], -v[86:87]
	v_add_f64 v[68:69], v[78:79], -v[82:83]
	v_fma_f64 v[52:53], v[62:63], s[12:13], v[52:53]
	v_fma_f64 v[108:109], v[62:63], s[12:13], v[64:65]
	v_add_f64 v[62:63], v[86:87], -v[82:83]
	v_add_f64 v[64:65], v[78:79], v[82:83]
	v_add_f64 v[54:55], v[54:55], v[60:61]
	v_add_f64 v[60:61], v[74:75], -v[78:79]
	s_waitcnt lgkmcnt(0)
	s_delay_alu instid0(VALU_DEP_3) | instskip(NEXT) | instid1(VALU_DEP_2)
	v_fma_f64 v[64:65], v[64:65], -0.5, v[116:117]
	v_add_f64 v[60:61], v[60:61], v[62:63]
	v_add_f64 v[62:63], v[76:77], v[80:81]
	s_delay_alu instid0(VALU_DEP_3) | instskip(SKIP_1) | instid1(VALU_DEP_3)
	v_fma_f64 v[118:119], v[104:105], s[16:17], v[64:65]
	v_fma_f64 v[64:65], v[104:105], s[14:15], v[64:65]
	v_fma_f64 v[62:63], v[62:63], -0.5, v[114:115]
	s_delay_alu instid0(VALU_DEP_3) | instskip(NEXT) | instid1(VALU_DEP_3)
	v_fma_f64 v[120:121], v[130:131], s[8:9], v[118:119]
	v_fma_f64 v[64:65], v[130:131], s[2:3], v[64:65]
	s_delay_alu instid0(VALU_DEP_3) | instskip(SKIP_1) | instid1(VALU_DEP_4)
	v_fma_f64 v[70:71], v[66:67], s[14:15], v[62:63]
	v_fma_f64 v[62:63], v[66:67], s[16:17], v[62:63]
	;; [unrolled: 1-line block ×3, first 2 shown]
	s_delay_alu instid0(VALU_DEP_4) | instskip(SKIP_4) | instid1(VALU_DEP_4)
	v_fma_f64 v[124:125], v[60:61], s[12:13], v[64:65]
	v_add_f64 v[64:65], v[116:117], v[74:75]
	v_add_f64 v[60:61], v[74:75], v[86:87]
	v_fma_f64 v[70:71], v[68:69], s[2:3], v[70:71]
	v_fma_f64 v[62:63], v[68:69], s[8:9], v[62:63]
	v_add_f64 v[64:65], v[64:65], v[78:79]
	s_delay_alu instid0(VALU_DEP_4) | instskip(NEXT) | instid1(VALU_DEP_4)
	v_fma_f64 v[60:61], v[60:61], -0.5, v[116:117]
	v_fma_f64 v[118:119], v[54:55], s[12:13], v[70:71]
	s_delay_alu instid0(VALU_DEP_4)
	v_fma_f64 v[122:123], v[54:55], s[12:13], v[62:63]
	v_add_f64 v[62:63], v[114:115], v[72:73]
	v_add_f64 v[54:55], v[72:73], v[84:85]
	v_add_f64 v[70:71], v[76:77], -v[72:73]
	v_add_f64 v[72:73], v[78:79], -v[74:75]
	;; [unrolled: 1-line block ×4, first 2 shown]
	v_add_f64 v[64:65], v[64:65], v[82:83]
	v_add_f64 v[62:63], v[62:63], v[76:77]
	v_fma_f64 v[54:55], v[54:55], -0.5, v[114:115]
	v_add_f64 v[70:71], v[70:71], v[74:75]
	v_add_f64 v[74:75], v[92:93], -v[96:97]
	v_add_f64 v[116:117], v[64:65], v[86:87]
	v_add_f64 v[62:63], v[62:63], v[80:81]
	v_fma_f64 v[64:65], v[68:69], s[16:17], v[54:55]
	v_fma_f64 v[54:55], v[68:69], s[14:15], v[54:55]
	;; [unrolled: 1-line block ×4, first 2 shown]
	v_add_f64 v[114:115], v[62:63], v[84:85]
	v_add_f64 v[62:63], v[82:83], -v[86:87]
	v_fma_f64 v[54:55], v[66:67], s[8:9], v[54:55]
	v_fma_f64 v[64:65], v[66:67], s[2:3], v[64:65]
	;; [unrolled: 1-line block ×4, first 2 shown]
	v_add_f64 v[68:69], v[94:95], -v[98:99]
	v_add_f64 v[62:63], v[72:73], v[62:63]
	v_fma_f64 v[144:145], v[70:71], s[12:13], v[54:55]
	v_add_f64 v[54:55], v[88:89], -v[92:93]
	v_fma_f64 v[130:131], v[70:71], s[12:13], v[64:65]
	v_add_f64 v[64:65], v[94:95], v[98:99]
	v_add_f64 v[72:73], v[88:89], -v[100:101]
	v_fma_f64 v[146:147], v[62:63], s[12:13], v[60:61]
	v_add_f64 v[60:61], v[100:101], -v[96:97]
	v_fma_f64 v[132:133], v[62:63], s[12:13], v[66:67]
	v_add_f64 v[62:63], v[102:103], -v[98:99]
	v_fma_f64 v[64:65], v[64:65], -0.5, v[150:151]
	v_add_f64 v[66:67], v[90:91], -v[102:103]
	v_add_f64 v[54:55], v[54:55], v[60:61]
	v_add_f64 v[60:61], v[90:91], -v[94:95]
	s_delay_alu instid0(VALU_DEP_4) | instskip(SKIP_1) | instid1(VALU_DEP_3)
	v_fma_f64 v[76:77], v[72:73], s[16:17], v[64:65]
	v_fma_f64 v[64:65], v[72:73], s[14:15], v[64:65]
	v_add_f64 v[60:61], v[60:61], v[62:63]
	v_add_f64 v[62:63], v[92:93], v[96:97]
	s_delay_alu instid0(VALU_DEP_4) | instskip(NEXT) | instid1(VALU_DEP_4)
	v_fma_f64 v[76:77], v[74:75], s[8:9], v[76:77]
	v_fma_f64 v[64:65], v[74:75], s[2:3], v[64:65]
	s_delay_alu instid0(VALU_DEP_3) | instskip(NEXT) | instid1(VALU_DEP_3)
	v_fma_f64 v[62:63], v[62:63], -0.5, v[148:149]
	v_fma_f64 v[158:159], v[60:61], s[12:13], v[76:77]
	s_delay_alu instid0(VALU_DEP_3)
	v_fma_f64 v[174:175], v[60:61], s[12:13], v[64:65]
	v_add_f64 v[64:65], v[150:151], v[90:91]
	v_add_f64 v[60:61], v[90:91], v[102:103]
	v_add_f64 v[76:77], v[94:95], -v[90:91]
	v_fma_f64 v[70:71], v[66:67], s[14:15], v[62:63]
	v_fma_f64 v[62:63], v[66:67], s[16:17], v[62:63]
	v_add_f64 v[64:65], v[64:65], v[94:95]
	v_fma_f64 v[60:61], v[60:61], -0.5, v[150:151]
	s_delay_alu instid0(VALU_DEP_4) | instskip(NEXT) | instid1(VALU_DEP_4)
	v_fma_f64 v[70:71], v[68:69], s[2:3], v[70:71]
	v_fma_f64 v[62:63], v[68:69], s[8:9], v[62:63]
	s_delay_alu instid0(VALU_DEP_4) | instskip(NEXT) | instid1(VALU_DEP_3)
	v_add_f64 v[64:65], v[64:65], v[98:99]
	v_fma_f64 v[156:157], v[54:55], s[12:13], v[70:71]
	s_delay_alu instid0(VALU_DEP_3) | instskip(SKIP_4) | instid1(VALU_DEP_4)
	v_fma_f64 v[172:173], v[54:55], s[12:13], v[62:63]
	v_add_f64 v[62:63], v[148:149], v[88:89]
	v_add_f64 v[54:55], v[88:89], v[100:101]
	v_add_f64 v[70:71], v[92:93], -v[88:89]
	v_add_f64 v[150:151], v[64:65], v[102:103]
	v_add_f64 v[62:63], v[62:63], v[92:93]
	s_delay_alu instid0(VALU_DEP_4) | instskip(NEXT) | instid1(VALU_DEP_4)
	v_fma_f64 v[54:55], v[54:55], -0.5, v[148:149]
	v_add_f64 v[70:71], v[70:71], v[78:79]
	s_delay_alu instid0(VALU_DEP_3) | instskip(NEXT) | instid1(VALU_DEP_3)
	v_add_f64 v[62:63], v[62:63], v[96:97]
	v_fma_f64 v[64:65], v[68:69], s[16:17], v[54:55]
	v_fma_f64 v[54:55], v[68:69], s[14:15], v[54:55]
	;; [unrolled: 1-line block ×4, first 2 shown]
	v_add_f64 v[74:75], v[34:35], -v[32:33]
	v_add_f64 v[148:149], v[62:63], v[100:101]
	v_add_f64 v[62:63], v[98:99], -v[102:103]
	v_fma_f64 v[54:55], v[66:67], s[8:9], v[54:55]
	v_fma_f64 v[64:65], v[66:67], s[2:3], v[64:65]
	;; [unrolled: 1-line block ×4, first 2 shown]
	v_add_f64 v[68:69], v[28:29], -v[30:31]
	v_add_f64 v[72:73], v[26:27], -v[36:37]
	v_add_f64 v[62:63], v[76:77], v[62:63]
	v_fma_f64 v[181:182], v[70:71], s[12:13], v[54:55]
	v_add_f64 v[54:55], v[26:27], -v[34:35]
	v_fma_f64 v[176:177], v[70:71], s[12:13], v[64:65]
	v_add_f64 v[64:65], v[28:29], v[30:31]
	v_fma_f64 v[183:184], v[62:63], s[12:13], v[60:61]
	v_add_f64 v[60:61], v[36:37], -v[32:33]
	v_fma_f64 v[178:179], v[62:63], s[12:13], v[66:67]
	v_add_f64 v[62:63], v[38:39], -v[30:31]
	v_add_f64 v[66:67], v[24:25], -v[38:39]
	v_fma_f64 v[64:65], v[64:65], -0.5, v[187:188]
	v_add_f64 v[54:55], v[54:55], v[60:61]
	v_add_f64 v[60:61], v[24:25], -v[28:29]
	s_delay_alu instid0(VALU_DEP_3) | instskip(SKIP_1) | instid1(VALU_DEP_3)
	v_fma_f64 v[76:77], v[72:73], s[16:17], v[64:65]
	v_fma_f64 v[64:65], v[72:73], s[14:15], v[64:65]
	v_add_f64 v[60:61], v[60:61], v[62:63]
	v_add_f64 v[62:63], v[34:35], v[32:33]
	s_delay_alu instid0(VALU_DEP_4) | instskip(NEXT) | instid1(VALU_DEP_4)
	v_fma_f64 v[76:77], v[74:75], s[8:9], v[76:77]
	v_fma_f64 v[64:65], v[74:75], s[2:3], v[64:65]
	s_delay_alu instid0(VALU_DEP_3) | instskip(NEXT) | instid1(VALU_DEP_3)
	v_fma_f64 v[62:63], v[62:63], -0.5, v[185:186]
	v_fma_f64 v[191:192], v[60:61], s[12:13], v[76:77]
	s_delay_alu instid0(VALU_DEP_3) | instskip(SKIP_4) | instid1(VALU_DEP_4)
	v_fma_f64 v[195:196], v[60:61], s[12:13], v[64:65]
	v_add_f64 v[60:61], v[24:25], v[38:39]
	v_add_f64 v[64:65], v[187:188], v[24:25]
	v_fma_f64 v[70:71], v[66:67], s[14:15], v[62:63]
	v_fma_f64 v[62:63], v[66:67], s[16:17], v[62:63]
	v_fma_f64 v[60:61], v[60:61], -0.5, v[187:188]
	s_delay_alu instid0(VALU_DEP_3) | instskip(NEXT) | instid1(VALU_DEP_3)
	v_fma_f64 v[70:71], v[68:69], s[2:3], v[70:71]
	v_fma_f64 v[62:63], v[68:69], s[8:9], v[62:63]
	s_delay_alu instid0(VALU_DEP_2) | instskip(NEXT) | instid1(VALU_DEP_2)
	v_fma_f64 v[189:190], v[54:55], s[12:13], v[70:71]
	v_fma_f64 v[193:194], v[54:55], s[12:13], v[62:63]
	v_add_f64 v[62:63], v[185:186], v[26:27]
	v_add_f64 v[54:55], v[26:27], v[36:37]
	v_add_f64 v[70:71], v[34:35], -v[26:27]
	s_delay_alu instid0(VALU_DEP_3) | instskip(NEXT) | instid1(VALU_DEP_3)
	v_add_f64 v[26:27], v[62:63], v[34:35]
	v_fma_f64 v[54:55], v[54:55], -0.5, v[185:186]
	v_add_f64 v[34:35], v[64:65], v[28:29]
	v_add_f64 v[28:29], v[28:29], -v[24:25]
	v_add_f64 v[62:63], v[18:19], v[16:17]
	v_add_f64 v[64:65], v[12:13], v[14:15]
	;; [unrolled: 1-line block ×3, first 2 shown]
	v_add_f64 v[32:33], v[32:33], -v[36:37]
	v_add_f64 v[26:27], v[34:35], v[30:31]
	v_add_f64 v[30:31], v[30:31], -v[38:39]
	v_fma_f64 v[34:35], v[68:69], s[16:17], v[54:55]
	v_add_f64 v[24:25], v[24:25], v[36:37]
	v_fma_f64 v[36:37], v[68:69], s[14:15], v[54:55]
	v_fma_f64 v[54:55], v[74:75], s[16:17], v[60:61]
	v_add_f64 v[26:27], v[26:27], v[38:39]
	v_fma_f64 v[38:39], v[74:75], s[14:15], v[60:61]
	v_add_f64 v[32:33], v[70:71], v[32:33]
	v_add_f64 v[60:61], v[28:29], v[30:31]
	v_fma_f64 v[28:29], v[66:67], s[2:3], v[34:35]
	v_add_f64 v[68:69], v[12:13], -v[14:15]
	v_add_f64 v[74:75], v[18:19], -v[16:17]
	v_fma_f64 v[34:35], v[66:67], s[8:9], v[36:37]
	v_fma_f64 v[36:37], v[72:73], s[2:3], v[54:55]
	v_add_f64 v[66:67], v[40:41], -v[22:23]
	v_fma_f64 v[30:31], v[72:73], s[8:9], v[38:39]
	v_add_f64 v[38:39], v[20:21], -v[16:17]
	v_add_f64 v[72:73], v[10:11], -v[20:21]
	v_fma_f64 v[28:29], v[32:33], s[12:13], v[28:29]
	v_fma_f64 v[32:33], v[32:33], s[12:13], v[34:35]
	;; [unrolled: 1-line block ×3, first 2 shown]
	v_add_f64 v[36:37], v[10:11], -v[18:19]
	v_fma_f64 v[30:31], v[60:61], s[12:13], v[30:31]
	s_delay_alu instid0(VALU_DEP_2) | instskip(SKIP_2) | instid1(VALU_DEP_1)
	v_add_f64 v[54:55], v[36:37], v[38:39]
	v_add_f64 v[36:37], v[40:41], -v[12:13]
	v_add_f64 v[38:39], v[22:23], -v[14:15]
	v_add_f64 v[60:61], v[36:37], v[38:39]
	ds_load_b128 v[36:39], v8 offset:8000
	s_waitcnt lgkmcnt(0)
	s_waitcnt_vscnt null, 0x0
	s_barrier
	buffer_gl0_inv
	ds_store_b128 v8, v[46:49]
	ds_store_b128 v8, v[114:117] offset:10000
	ds_store_b128 v8, v[0:3] offset:2000
	;; [unrolled: 1-line block ×9, first 2 shown]
	v_and_b32_e32 v0, 0xffff, v43
	s_delay_alu instid0(VALU_DEP_1)
	v_lshlrev_b32_e32 v0, 4, v0
	ds_store_b128 v0, v[148:151] offset:20000
	ds_store_b128 v0, v[156:159] offset:22000
	;; [unrolled: 1-line block ×4, first 2 shown]
	v_dual_mov_b32 v1, v0 :: v_dual_and_b32 v0, 0xffff, v44
	v_fma_f64 v[62:63], v[62:63], -0.5, v[36:37]
	v_fma_f64 v[64:65], v[64:65], -0.5, v[38:39]
	s_delay_alu instid0(VALU_DEP_3)
	v_lshlrev_b32_e32 v179, 4, v0
	v_and_b32_e32 v0, 0xffff, v45
	scratch_store_b32 off, v1, off offset:1508 ; 4-byte Folded Spill
	ds_store_b128 v179, v[24:27] offset:30000
	ds_store_b128 v179, v[189:192] offset:32000
	;; [unrolled: 1-line block ×6, first 2 shown]
	v_lshlrev_b32_e32 v125, 4, v0
	v_fma_f64 v[70:71], v[66:67], s[14:15], v[62:63]
	v_fma_f64 v[76:77], v[72:73], s[16:17], v[64:65]
	;; [unrolled: 1-line block ×4, first 2 shown]
	s_delay_alu instid0(VALU_DEP_4) | instskip(NEXT) | instid1(VALU_DEP_4)
	v_fma_f64 v[70:71], v[68:69], s[2:3], v[70:71]
	v_fma_f64 v[76:77], v[74:75], s[8:9], v[76:77]
	s_delay_alu instid0(VALU_DEP_4) | instskip(NEXT) | instid1(VALU_DEP_4)
	v_fma_f64 v[62:63], v[68:69], s[8:9], v[62:63]
	v_fma_f64 v[64:65], v[74:75], s[2:3], v[64:65]
	s_delay_alu instid0(VALU_DEP_4) | instskip(NEXT) | instid1(VALU_DEP_4)
	v_fma_f64 v[185:186], v[54:55], s[12:13], v[70:71]
	v_fma_f64 v[187:188], v[60:61], s[12:13], v[76:77]
	s_delay_alu instid0(VALU_DEP_4) | instskip(NEXT) | instid1(VALU_DEP_4)
	v_fma_f64 v[197:198], v[54:55], s[12:13], v[62:63]
	v_fma_f64 v[199:200], v[60:61], s[12:13], v[64:65]
	v_add_f64 v[54:55], v[10:11], v[20:21]
	v_add_f64 v[60:61], v[40:41], v[22:23]
	v_add_f64 v[62:63], v[18:19], -v[10:11]
	s_delay_alu instid0(VALU_DEP_3) | instskip(NEXT) | instid1(VALU_DEP_3)
	v_fma_f64 v[54:55], v[54:55], -0.5, v[36:37]
	v_fma_f64 v[60:61], v[60:61], -0.5, v[38:39]
	v_add_f64 v[36:37], v[36:37], v[10:11]
	v_add_f64 v[38:39], v[38:39], v[40:41]
	s_delay_alu instid0(VALU_DEP_2) | instskip(NEXT) | instid1(VALU_DEP_2)
	v_add_f64 v[9:10], v[36:37], v[18:19]
	v_add_f64 v[18:19], v[38:39], v[12:13]
	v_add_f64 v[36:37], v[12:13], -v[40:41]
	v_fma_f64 v[38:39], v[74:75], s[16:17], v[60:61]
	s_delay_alu instid0(VALU_DEP_4) | instskip(NEXT) | instid1(VALU_DEP_4)
	v_add_f64 v[9:10], v[9:10], v[16:17]
	v_add_f64 v[12:13], v[18:19], v[14:15]
	v_add_f64 v[16:17], v[16:17], -v[20:21]
	v_add_f64 v[14:15], v[14:15], -v[22:23]
	v_fma_f64 v[18:19], v[68:69], s[16:17], v[54:55]
	v_add_f64 v[10:11], v[9:10], v[20:21]
	v_add_f64 v[12:13], v[12:13], v[22:23]
	v_fma_f64 v[22:23], v[74:75], s[14:15], v[60:61]
	v_fma_f64 v[20:21], v[68:69], s[14:15], v[54:55]
	v_add_f64 v[40:41], v[62:63], v[16:17]
	v_add_f64 v[36:37], v[36:37], v[14:15]
	v_fma_f64 v[14:15], v[66:67], s[2:3], v[18:19]
	v_add_co_u32 v9, s18, s10, v42
	s_delay_alu instid0(VALU_DEP_1) | instskip(SKIP_4) | instid1(VALU_DEP_4)
	v_add_co_u32 v0, vcc_lo, 0x2000, v9
	v_fma_f64 v[16:17], v[72:73], s[8:9], v[22:23]
	v_fma_f64 v[18:19], v[66:67], s[8:9], v[20:21]
	;; [unrolled: 1-line block ×5, first 2 shown]
	s_delay_alu instid0(VALU_DEP_4) | instskip(NEXT) | instid1(VALU_DEP_4)
	v_fma_f64 v[18:19], v[40:41], s[12:13], v[18:19]
	v_fma_f64 v[20:21], v[36:37], s[12:13], v[20:21]
	ds_store_b128 v125, v[10:13] offset:40000
	ds_store_b128 v125, v[185:188] offset:42000
	;; [unrolled: 1-line block ×5, first 2 shown]
	v_add_co_ci_u32_e64 v10, null, s11, 0, s18
	s_waitcnt lgkmcnt(0)
	s_waitcnt_vscnt null, 0x0
	s_barrier
	buffer_gl0_inv
	v_add_co_ci_u32_e32 v1, vcc_lo, 0, v10, vcc_lo
	v_add_co_u32 v9, vcc_lo, 0x26c0, v9
	v_add_co_ci_u32_e32 v10, vcc_lo, 0, v10, vcc_lo
	global_load_b128 v[11:14], v[0:1], off offset:1728
	ds_load_b128 v[0:3], v8 offset:10000
	global_load_b128 v[17:20], v[9:10], off offset:32
	s_waitcnt vmcnt(1) lgkmcnt(0)
	v_mul_f64 v[4:5], v[2:3], v[13:14]
	scratch_store_b128 off, v[11:14], off offset:1260 ; 16-byte Folded Spill
	s_waitcnt vmcnt(0)
	scratch_store_b128 off, v[17:20], off offset:1128 ; 16-byte Folded Spill
	v_fma_f64 v[4:5], v[0:1], v[11:12], -v[4:5]
	v_mul_f64 v[0:1], v[0:1], v[13:14]
	global_load_b128 v[13:16], v[9:10], off offset:16
	v_fma_f64 v[6:7], v[2:3], v[11:12], v[0:1]
	ds_load_b128 v[0:3], v8 offset:20000
	s_waitcnt vmcnt(0) lgkmcnt(0)
	v_mul_f64 v[11:12], v[2:3], v[15:16]
	scratch_store_b128 off, v[13:16], off offset:1192 ; 16-byte Folded Spill
	v_fma_f64 v[11:12], v[0:1], v[13:14], -v[11:12]
	v_mul_f64 v[0:1], v[0:1], v[15:16]
	s_delay_alu instid0(VALU_DEP_1) | instskip(SKIP_3) | instid1(VALU_DEP_1)
	v_fma_f64 v[13:14], v[2:3], v[13:14], v[0:1]
	ds_load_b128 v[0:3], v8 offset:30000
	s_waitcnt lgkmcnt(0)
	v_mul_f64 v[15:16], v[2:3], v[19:20]
	v_fma_f64 v[15:16], v[0:1], v[17:18], -v[15:16]
	v_mul_f64 v[0:1], v[0:1], v[19:20]
	global_load_b128 v[19:22], v[9:10], off offset:48
	v_add_f64 v[80:81], v[11:12], v[15:16]
	v_fma_f64 v[17:18], v[2:3], v[17:18], v[0:1]
	ds_load_b128 v[0:3], v8 offset:40000
	v_add_f64 v[94:95], v[11:12], -v[15:16]
	v_add_f64 v[82:83], v[13:14], v[17:18]
	v_add_f64 v[86:87], v[13:14], -v[17:18]
	s_waitcnt vmcnt(0) lgkmcnt(0)
	v_mul_f64 v[9:10], v[2:3], v[21:22]
	scratch_store_b128 off, v[19:22], off offset:1112 ; 16-byte Folded Spill
	v_fma_f64 v[9:10], v[0:1], v[19:20], -v[9:10]
	v_mul_f64 v[0:1], v[0:1], v[21:22]
	s_delay_alu instid0(VALU_DEP_2) | instskip(NEXT) | instid1(VALU_DEP_2)
	v_add_f64 v[92:93], v[4:5], -v[9:10]
	v_fma_f64 v[19:20], v[2:3], v[19:20], v[0:1]
	v_lshlrev_b32_e32 v0, 6, v59
	s_delay_alu instid0(VALU_DEP_1) | instskip(NEXT) | instid1(VALU_DEP_1)
	v_add_co_u32 v25, s18, s10, v0
	v_add_co_ci_u32_e64 v26, null, s11, 0, s18
	s_delay_alu instid0(VALU_DEP_2) | instskip(NEXT) | instid1(VALU_DEP_2)
	v_add_co_u32 v0, vcc_lo, 0x2000, v25
	v_add_co_ci_u32_e32 v1, vcc_lo, 0, v26, vcc_lo
	v_add_co_u32 v25, vcc_lo, 0x26c0, v25
	v_add_co_ci_u32_e32 v26, vcc_lo, 0, v26, vcc_lo
	global_load_b128 v[27:30], v[0:1], off offset:1728
	ds_load_b128 v[0:3], v8 offset:12000
	v_add_f64 v[84:85], v[6:7], -v[19:20]
	s_waitcnt vmcnt(0) lgkmcnt(0)
	v_mul_f64 v[21:22], v[2:3], v[29:30]
	scratch_store_b128 off, v[27:30], off offset:1388 ; 16-byte Folded Spill
	v_fma_f64 v[21:22], v[0:1], v[27:28], -v[21:22]
	v_mul_f64 v[0:1], v[0:1], v[29:30]
	global_load_b128 v[29:32], v[25:26], off offset:16
	v_fma_f64 v[23:24], v[2:3], v[27:28], v[0:1]
	ds_load_b128 v[0:3], v8 offset:22000
	s_waitcnt vmcnt(0) lgkmcnt(0)
	v_mul_f64 v[27:28], v[2:3], v[31:32]
	scratch_store_b128 off, v[29:32], off offset:1372 ; 16-byte Folded Spill
	v_fma_f64 v[27:28], v[0:1], v[29:30], -v[27:28]
	v_mul_f64 v[0:1], v[0:1], v[31:32]
	global_load_b128 v[31:34], v[25:26], off offset:32
	v_fma_f64 v[59:60], v[2:3], v[29:30], v[0:1]
	ds_load_b128 v[0:3], v8 offset:32000
	s_waitcnt vmcnt(0) lgkmcnt(0)
	v_mul_f64 v[29:30], v[2:3], v[33:34]
	scratch_store_b128 off, v[31:34], off offset:1356 ; 16-byte Folded Spill
	v_fma_f64 v[61:62], v[0:1], v[31:32], -v[29:30]
	v_mul_f64 v[0:1], v[0:1], v[33:34]
	s_delay_alu instid0(VALU_DEP_1)
	v_fma_f64 v[68:69], v[2:3], v[31:32], v[0:1]
	global_load_b128 v[29:32], v[25:26], off offset:48
	ds_load_b128 v[0:3], v8 offset:42000
	s_waitcnt vmcnt(0) lgkmcnt(0)
	v_mul_f64 v[25:26], v[2:3], v[31:32]
	scratch_store_b128 off, v[29:32], off offset:1340 ; 16-byte Folded Spill
	v_fma_f64 v[25:26], v[0:1], v[29:30], -v[25:26]
	v_mul_f64 v[0:1], v[0:1], v[31:32]
	s_delay_alu instid0(VALU_DEP_1) | instskip(SKIP_1) | instid1(VALU_DEP_1)
	v_fma_f64 v[70:71], v[2:3], v[29:30], v[0:1]
	v_lshlrev_b32_e32 v0, 6, v58
	v_add_co_u32 v31, s18, s10, v0
	s_delay_alu instid0(VALU_DEP_1) | instskip(NEXT) | instid1(VALU_DEP_2)
	v_add_co_ci_u32_e64 v32, null, s11, 0, s18
	v_add_co_u32 v0, vcc_lo, 0x2000, v31
	s_delay_alu instid0(VALU_DEP_2)
	v_add_co_ci_u32_e32 v1, vcc_lo, 0, v32, vcc_lo
	v_add_co_u32 v31, vcc_lo, 0x26c0, v31
	v_add_co_ci_u32_e32 v32, vcc_lo, 0, v32, vcc_lo
	global_load_b128 v[33:36], v[0:1], off offset:1728
	ds_load_b128 v[0:3], v8 offset:14000
	global_load_b128 v[39:42], v[31:32], off offset:16
	s_waitcnt vmcnt(1) lgkmcnt(0)
	v_mul_f64 v[29:30], v[2:3], v[35:36]
	scratch_store_b128 off, v[33:36], off offset:1444 ; 16-byte Folded Spill
	s_waitcnt vmcnt(0)
	scratch_store_b128 off, v[39:42], off offset:1476 ; 16-byte Folded Spill
	v_fma_f64 v[37:38], v[0:1], v[33:34], -v[29:30]
	v_mul_f64 v[0:1], v[0:1], v[35:36]
	s_delay_alu instid0(VALU_DEP_1) | instskip(SKIP_3) | instid1(VALU_DEP_1)
	v_fma_f64 v[66:67], v[2:3], v[33:34], v[0:1]
	ds_load_b128 v[0:3], v8 offset:24000
	s_waitcnt lgkmcnt(0)
	v_mul_f64 v[33:34], v[2:3], v[41:42]
	v_fma_f64 v[149:150], v[0:1], v[39:40], -v[33:34]
	v_mul_f64 v[0:1], v[0:1], v[41:42]
	s_delay_alu instid0(VALU_DEP_1)
	v_fma_f64 v[35:36], v[2:3], v[39:40], v[0:1]
	global_load_b128 v[39:42], v[31:32], off offset:32
	ds_load_b128 v[0:3], v8 offset:34000
	s_waitcnt vmcnt(0) lgkmcnt(0)
	v_mul_f64 v[33:34], v[2:3], v[41:42]
	scratch_store_b128 off, v[39:42], off offset:1428 ; 16-byte Folded Spill
	v_fma_f64 v[33:34], v[0:1], v[39:40], -v[33:34]
	v_mul_f64 v[0:1], v[0:1], v[41:42]
	s_delay_alu instid0(VALU_DEP_1)
	v_fma_f64 v[102:103], v[2:3], v[39:40], v[0:1]
	global_load_b128 v[39:42], v[31:32], off offset:48
	ds_load_b128 v[0:3], v8 offset:44000
	s_waitcnt vmcnt(0) lgkmcnt(0)
	v_mul_f64 v[31:32], v[2:3], v[41:42]
	scratch_store_b128 off, v[39:42], off offset:1208 ; 16-byte Folded Spill
	v_fma_f64 v[29:30], v[0:1], v[39:40], -v[31:32]
	v_mul_f64 v[0:1], v[0:1], v[41:42]
	s_delay_alu instid0(VALU_DEP_1) | instskip(SKIP_1) | instid1(VALU_DEP_1)
	v_fma_f64 v[100:101], v[2:3], v[39:40], v[0:1]
	v_lshlrev_b32_e32 v0, 6, v57
	v_add_co_u32 v39, s18, s10, v0
	s_delay_alu instid0(VALU_DEP_1) | instskip(NEXT) | instid1(VALU_DEP_2)
	v_add_co_ci_u32_e64 v44, null, s11, 0, s18
	v_add_co_u32 v0, vcc_lo, 0x2000, v39
	s_delay_alu instid0(VALU_DEP_2)
	v_add_co_ci_u32_e32 v1, vcc_lo, 0, v44, vcc_lo
	global_load_b128 v[45:48], v[0:1], off offset:1728
	ds_load_b128 v[0:3], v8 offset:16000
	s_waitcnt vmcnt(0) lgkmcnt(0)
	v_mul_f64 v[31:32], v[2:3], v[47:48]
	scratch_store_b128 off, v[45:48], off offset:1408 ; 16-byte Folded Spill
	v_fma_f64 v[42:43], v[0:1], v[45:46], -v[31:32]
	v_mul_f64 v[0:1], v[0:1], v[47:48]
	v_add_co_u32 v31, vcc_lo, 0x26c0, v39
	v_add_co_ci_u32_e32 v32, vcc_lo, 0, v44, vcc_lo
	s_clause 0x1
	global_load_b128 v[52:55], v[31:32], off offset:32
	global_load_b128 v[72:75], v[31:32], off offset:48
	v_fma_f64 v[40:41], v[2:3], v[45:46], v[0:1]
	global_load_b128 v[46:49], v[31:32], off offset:16
	ds_load_b128 v[0:3], v8 offset:26000
	s_waitcnt vmcnt(2)
	scratch_store_b128 off, v[52:55], off offset:1032 ; 16-byte Folded Spill
	s_waitcnt vmcnt(1)
	scratch_store_b128 off, v[72:75], off offset:1012 ; 16-byte Folded Spill
	s_waitcnt vmcnt(0) lgkmcnt(0)
	v_mul_f64 v[44:45], v[2:3], v[48:49]
	scratch_store_b128 off, v[46:49], off offset:1048 ; 16-byte Folded Spill
	v_fma_f64 v[50:51], v[0:1], v[46:47], -v[44:45]
	v_mul_f64 v[0:1], v[0:1], v[48:49]
	s_delay_alu instid0(VALU_DEP_1) | instskip(SKIP_3) | instid1(VALU_DEP_1)
	v_fma_f64 v[44:45], v[2:3], v[46:47], v[0:1]
	ds_load_b128 v[0:3], v8 offset:36000
	s_waitcnt lgkmcnt(0)
	v_mul_f64 v[46:47], v[2:3], v[54:55]
	v_fma_f64 v[48:49], v[0:1], v[52:53], -v[46:47]
	v_mul_f64 v[0:1], v[0:1], v[54:55]
	s_delay_alu instid0(VALU_DEP_1) | instskip(SKIP_3) | instid1(VALU_DEP_1)
	v_fma_f64 v[46:47], v[2:3], v[52:53], v[0:1]
	ds_load_b128 v[0:3], v8 offset:46000
	s_waitcnt lgkmcnt(0)
	v_mul_f64 v[31:32], v[2:3], v[74:75]
	v_fma_f64 v[52:53], v[0:1], v[72:73], -v[31:32]
	v_mul_f64 v[0:1], v[0:1], v[74:75]
	s_delay_alu instid0(VALU_DEP_1) | instskip(SKIP_1) | instid1(VALU_DEP_1)
	v_fma_f64 v[54:55], v[2:3], v[72:73], v[0:1]
	v_lshlrev_b32_e32 v0, 6, v56
	v_add_co_u32 v39, s10, s10, v0
	s_delay_alu instid0(VALU_DEP_1) | instskip(NEXT) | instid1(VALU_DEP_2)
	v_add_co_ci_u32_e64 v56, null, s11, 0, s10
	v_add_co_u32 v0, vcc_lo, 0x2000, v39
	s_delay_alu instid0(VALU_DEP_2)
	v_add_co_ci_u32_e32 v1, vcc_lo, 0, v56, vcc_lo
	global_load_b128 v[72:75], v[0:1], off offset:1728
	ds_load_b128 v[0:3], v8 offset:18000
	s_waitcnt vmcnt(0) lgkmcnt(0)
	v_mul_f64 v[31:32], v[2:3], v[74:75]
	scratch_store_b128 off, v[72:75], off offset:1244 ; 16-byte Folded Spill
	v_fma_f64 v[130:131], v[0:1], v[72:73], -v[31:32]
	v_mul_f64 v[0:1], v[0:1], v[74:75]
	v_add_co_u32 v31, vcc_lo, 0x26c0, v39
	v_add_co_ci_u32_e32 v32, vcc_lo, 0, v56, vcc_lo
	s_delay_alu instid0(VALU_DEP_3)
	v_fma_f64 v[104:105], v[2:3], v[72:73], v[0:1]
	global_load_b128 v[72:75], v[31:32], off offset:16
	ds_load_b128 v[0:3], v8 offset:28000
	s_waitcnt vmcnt(0) lgkmcnt(0)
	v_mul_f64 v[56:57], v[2:3], v[74:75]
	scratch_store_b128 off, v[72:75], off offset:1228 ; 16-byte Folded Spill
	v_fma_f64 v[186:187], v[0:1], v[72:73], -v[56:57]
	v_mul_f64 v[0:1], v[0:1], v[74:75]
	global_load_b128 v[74:77], v[31:32], off offset:32
	v_fma_f64 v[72:73], v[2:3], v[72:73], v[0:1]
	ds_load_b128 v[0:3], v8 offset:38000
	s_waitcnt vmcnt(0) lgkmcnt(0)
	v_mul_f64 v[56:57], v[2:3], v[76:77]
	scratch_store_b128 off, v[74:77], off offset:1080 ; 16-byte Folded Spill
	v_fma_f64 v[63:64], v[0:1], v[74:75], -v[56:57]
	v_mul_f64 v[0:1], v[0:1], v[76:77]
	global_load_b128 v[76:79], v[31:32], off offset:48
	v_fma_f64 v[74:75], v[2:3], v[74:75], v[0:1]
	ds_load_b128 v[0:3], v8 offset:48000
	s_waitcnt vmcnt(0) lgkmcnt(0)
	v_mul_f64 v[31:32], v[2:3], v[78:79]
	scratch_store_b128 off, v[76:79], off offset:1064 ; 16-byte Folded Spill
	v_fma_f64 v[56:57], v[0:1], v[76:77], -v[31:32]
	v_mul_f64 v[0:1], v[0:1], v[78:79]
	s_delay_alu instid0(VALU_DEP_1) | instskip(SKIP_2) | instid1(VALU_DEP_1)
	v_fma_f64 v[31:32], v[2:3], v[76:77], v[0:1]
	v_add_f64 v[0:1], v[4:5], -v[11:12]
	v_add_f64 v[2:3], v[9:10], -v[15:16]
	v_add_f64 v[76:77], v[0:1], v[2:3]
	v_add_f64 v[0:1], v[6:7], -v[13:14]
	v_add_f64 v[2:3], v[19:20], -v[17:18]
	s_delay_alu instid0(VALU_DEP_1) | instskip(SKIP_4) | instid1(VALU_DEP_2)
	v_add_f64 v[78:79], v[0:1], v[2:3]
	ds_load_b128 v[0:3], v8
	s_waitcnt lgkmcnt(0)
	v_fma_f64 v[80:81], v[80:81], -0.5, v[0:1]
	v_fma_f64 v[82:83], v[82:83], -0.5, v[2:3]
	v_fma_f64 v[88:89], v[84:85], s[14:15], v[80:81]
	s_delay_alu instid0(VALU_DEP_2) | instskip(SKIP_2) | instid1(VALU_DEP_4)
	v_fma_f64 v[90:91], v[92:93], s[16:17], v[82:83]
	v_fma_f64 v[80:81], v[84:85], s[16:17], v[80:81]
	;; [unrolled: 1-line block ×4, first 2 shown]
	s_delay_alu instid0(VALU_DEP_4) | instskip(NEXT) | instid1(VALU_DEP_4)
	v_fma_f64 v[90:91], v[94:95], s[8:9], v[90:91]
	v_fma_f64 v[80:81], v[86:87], s[8:9], v[80:81]
	s_delay_alu instid0(VALU_DEP_4) | instskip(NEXT) | instid1(VALU_DEP_4)
	v_fma_f64 v[82:83], v[94:95], s[2:3], v[82:83]
	v_fma_f64 v[118:119], v[76:77], s[12:13], v[88:89]
	;; [unrolled: 3-line block ×3, first 2 shown]
	s_delay_alu instid0(VALU_DEP_4) | instskip(SKIP_3) | instid1(VALU_DEP_3)
	v_fma_f64 v[116:117], v[78:79], s[12:13], v[82:83]
	v_add_f64 v[76:77], v[4:5], v[9:10]
	v_add_f64 v[78:79], v[6:7], v[19:20]
	v_add_f64 v[80:81], v[27:28], -v[61:62]
	v_fma_f64 v[76:77], v[76:77], -0.5, v[0:1]
	s_delay_alu instid0(VALU_DEP_3) | instskip(SKIP_4) | instid1(VALU_DEP_4)
	v_fma_f64 v[78:79], v[78:79], -0.5, v[2:3]
	v_add_f64 v[0:1], v[0:1], v[4:5]
	v_add_f64 v[2:3], v[2:3], v[6:7]
	v_add_f64 v[4:5], v[11:12], -v[4:5]
	v_add_f64 v[6:7], v[13:14], -v[6:7]
	v_add_f64 v[0:1], v[0:1], v[11:12]
	s_delay_alu instid0(VALU_DEP_4) | instskip(SKIP_2) | instid1(VALU_DEP_4)
	v_add_f64 v[2:3], v[2:3], v[13:14]
	v_add_f64 v[11:12], v[15:16], -v[9:10]
	v_fma_f64 v[13:14], v[94:95], s[14:15], v[78:79]
	v_add_f64 v[0:1], v[0:1], v[15:16]
	s_delay_alu instid0(VALU_DEP_4) | instskip(SKIP_2) | instid1(VALU_DEP_4)
	v_add_f64 v[2:3], v[2:3], v[17:18]
	v_fma_f64 v[15:16], v[94:95], s[16:17], v[78:79]
	v_add_f64 v[4:5], v[4:5], v[11:12]
	v_add_f64 v[88:89], v[0:1], v[9:10]
	s_delay_alu instid0(VALU_DEP_4)
	v_add_f64 v[90:91], v[2:3], v[19:20]
	v_add_f64 v[0:1], v[17:18], -v[19:20]
	v_fma_f64 v[2:3], v[86:87], s[16:17], v[76:77]
	v_fma_f64 v[9:10], v[86:87], s[14:15], v[76:77]
	;; [unrolled: 1-line block ×3, first 2 shown]
	v_add_f64 v[19:20], v[21:22], -v[25:26]
	v_add_f64 v[15:16], v[59:60], -v[68:69]
	v_add_f64 v[0:1], v[6:7], v[0:1]
	v_fma_f64 v[2:3], v[84:85], s[2:3], v[2:3]
	v_fma_f64 v[6:7], v[84:85], s[8:9], v[9:10]
	v_fma_f64 v[9:10], v[92:93], s[8:9], v[13:14]
	v_add_f64 v[13:14], v[23:24], -v[70:71]
	v_fma_f64 v[108:109], v[0:1], s[12:13], v[11:12]
	v_fma_f64 v[110:111], v[4:5], s[12:13], v[2:3]
	v_add_f64 v[2:3], v[25:26], -v[61:62]
	v_fma_f64 v[112:113], v[0:1], s[12:13], v[9:10]
	v_add_f64 v[0:1], v[21:22], -v[27:28]
	v_fma_f64 v[106:107], v[4:5], s[12:13], v[6:7]
	v_add_f64 v[9:10], v[27:28], v[61:62]
	v_add_f64 v[11:12], v[59:60], v[68:69]
	s_delay_alu instid0(VALU_DEP_4) | instskip(SKIP_2) | instid1(VALU_DEP_1)
	v_add_f64 v[4:5], v[0:1], v[2:3]
	v_add_f64 v[0:1], v[23:24], -v[59:60]
	v_add_f64 v[2:3], v[70:71], -v[68:69]
	v_add_f64 v[6:7], v[0:1], v[2:3]
	ds_load_b128 v[0:3], v8 offset:2000
	s_waitcnt lgkmcnt(0)
	v_fma_f64 v[9:10], v[9:10], -0.5, v[0:1]
	v_fma_f64 v[11:12], v[11:12], -0.5, v[2:3]
	s_delay_alu instid0(VALU_DEP_2) | instskip(NEXT) | instid1(VALU_DEP_2)
	v_fma_f64 v[17:18], v[13:14], s[14:15], v[9:10]
	v_fma_f64 v[76:77], v[19:20], s[16:17], v[11:12]
	;; [unrolled: 1-line block ×4, first 2 shown]
	s_delay_alu instid0(VALU_DEP_4) | instskip(NEXT) | instid1(VALU_DEP_4)
	v_fma_f64 v[17:18], v[15:16], s[2:3], v[17:18]
	v_fma_f64 v[76:77], v[80:81], s[8:9], v[76:77]
	s_delay_alu instid0(VALU_DEP_4) | instskip(NEXT) | instid1(VALU_DEP_4)
	v_fma_f64 v[9:10], v[15:16], s[8:9], v[9:10]
	v_fma_f64 v[11:12], v[80:81], s[2:3], v[11:12]
	;; [unrolled: 3-line block ×4, first 2 shown]
	v_add_f64 v[4:5], v[21:22], v[25:26]
	v_add_f64 v[6:7], v[23:24], v[70:71]
	v_add_f64 v[9:10], v[27:28], -v[21:22]
	v_add_f64 v[11:12], v[59:60], -v[23:24]
	;; [unrolled: 1-line block ×3, first 2 shown]
	v_fma_f64 v[4:5], v[4:5], -0.5, v[0:1]
	v_fma_f64 v[6:7], v[6:7], -0.5, v[2:3]
	v_add_f64 v[0:1], v[0:1], v[21:22]
	v_add_f64 v[2:3], v[2:3], v[23:24]
	;; [unrolled: 1-line block ×3, first 2 shown]
	v_add_f64 v[17:18], v[66:67], -v[100:101]
	v_add_f64 v[21:22], v[37:38], -v[29:30]
	;; [unrolled: 1-line block ×3, first 2 shown]
	v_add_f64 v[0:1], v[0:1], v[27:28]
	v_add_f64 v[2:3], v[2:3], v[59:60]
	s_delay_alu instid0(VALU_DEP_2) | instskip(NEXT) | instid1(VALU_DEP_2)
	v_add_f64 v[0:1], v[0:1], v[61:62]
	v_add_f64 v[2:3], v[2:3], v[68:69]
	s_delay_alu instid0(VALU_DEP_2) | instskip(NEXT) | instid1(VALU_DEP_2)
	v_add_f64 v[76:77], v[0:1], v[25:26]
	v_add_f64 v[78:79], v[2:3], v[70:71]
	v_add_f64 v[0:1], v[68:69], -v[70:71]
	v_fma_f64 v[2:3], v[15:16], s[16:17], v[4:5]
	v_fma_f64 v[4:5], v[15:16], s[14:15], v[4:5]
	;; [unrolled: 1-line block ×4, first 2 shown]
	v_add_f64 v[25:26], v[33:34], -v[29:30]
	v_add_f64 v[0:1], v[11:12], v[0:1]
	v_fma_f64 v[2:3], v[13:14], s[2:3], v[2:3]
	v_fma_f64 v[4:5], v[13:14], s[8:9], v[4:5]
	;; [unrolled: 1-line block ×4, first 2 shown]
	v_add_f64 v[19:20], v[35:36], -v[102:103]
	v_fma_f64 v[84:85], v[9:10], s[12:13], v[2:3]
	v_add_f64 v[2:3], v[29:30], -v[33:34]
	v_fma_f64 v[86:87], v[0:1], s[12:13], v[11:12]
	v_fma_f64 v[82:83], v[0:1], s[12:13], v[6:7]
	v_add_f64 v[0:1], v[37:38], -v[149:150]
	v_fma_f64 v[80:81], v[9:10], s[12:13], v[4:5]
	v_add_f64 v[9:10], v[149:150], v[33:34]
	v_add_f64 v[11:12], v[35:36], v[102:103]
	s_delay_alu instid0(VALU_DEP_4) | instskip(SKIP_2) | instid1(VALU_DEP_1)
	v_add_f64 v[4:5], v[0:1], v[2:3]
	v_add_f64 v[0:1], v[66:67], -v[35:36]
	v_add_f64 v[2:3], v[100:101], -v[102:103]
	v_add_f64 v[6:7], v[0:1], v[2:3]
	ds_load_b128 v[0:3], v8 offset:4000
	s_waitcnt lgkmcnt(0)
	v_fma_f64 v[9:10], v[9:10], -0.5, v[0:1]
	v_fma_f64 v[11:12], v[11:12], -0.5, v[2:3]
	s_delay_alu instid0(VALU_DEP_2) | instskip(NEXT) | instid1(VALU_DEP_2)
	v_fma_f64 v[13:14], v[17:18], s[14:15], v[9:10]
	v_fma_f64 v[15:16], v[21:22], s[16:17], v[11:12]
	;; [unrolled: 1-line block ×4, first 2 shown]
	s_delay_alu instid0(VALU_DEP_4) | instskip(NEXT) | instid1(VALU_DEP_4)
	v_fma_f64 v[13:14], v[19:20], s[2:3], v[13:14]
	v_fma_f64 v[15:16], v[23:24], s[8:9], v[15:16]
	s_delay_alu instid0(VALU_DEP_4) | instskip(NEXT) | instid1(VALU_DEP_4)
	v_fma_f64 v[9:10], v[19:20], s[8:9], v[9:10]
	v_fma_f64 v[11:12], v[23:24], s[2:3], v[11:12]
	;; [unrolled: 3-line block ×4, first 2 shown]
	v_add_f64 v[4:5], v[37:38], v[29:30]
	v_add_f64 v[6:7], v[66:67], v[100:101]
	v_add_f64 v[9:10], v[149:150], -v[37:38]
	v_add_f64 v[11:12], v[35:36], -v[66:67]
	s_delay_alu instid0(VALU_DEP_4) | instskip(NEXT) | instid1(VALU_DEP_4)
	v_fma_f64 v[4:5], v[4:5], -0.5, v[0:1]
	v_fma_f64 v[6:7], v[6:7], -0.5, v[2:3]
	v_add_f64 v[0:1], v[0:1], v[37:38]
	v_add_f64 v[2:3], v[2:3], v[66:67]
	;; [unrolled: 1-line block ×3, first 2 shown]
	ds_load_b128 v[25:28], v8 offset:6000
	v_add_f64 v[37:38], v[50:51], -v[48:49]
	v_add_f64 v[65:66], v[104:105], -v[31:32]
	v_add_f64 v[0:1], v[0:1], v[149:150]
	v_add_f64 v[2:3], v[2:3], v[35:36]
	v_add_f64 v[35:36], v[42:43], -v[52:53]
	s_delay_alu instid0(VALU_DEP_3) | instskip(NEXT) | instid1(VALU_DEP_3)
	v_add_f64 v[0:1], v[0:1], v[33:34]
	v_add_f64 v[2:3], v[2:3], v[102:103]
	v_add_f64 v[33:34], v[44:45], -v[46:47]
	s_delay_alu instid0(VALU_DEP_3) | instskip(NEXT) | instid1(VALU_DEP_3)
	v_add_f64 v[13:14], v[0:1], v[29:30]
	v_add_f64 v[15:16], v[2:3], v[100:101]
	v_add_f64 v[0:1], v[102:103], -v[100:101]
	v_fma_f64 v[2:3], v[19:20], s[16:17], v[4:5]
	v_fma_f64 v[4:5], v[19:20], s[14:15], v[4:5]
	;; [unrolled: 1-line block ×4, first 2 shown]
	v_add_f64 v[29:30], v[40:41], -v[54:55]
	v_add_f64 v[100:101], v[186:187], -v[63:64]
	;; [unrolled: 1-line block ×3, first 2 shown]
	v_add_f64 v[0:1], v[11:12], v[0:1]
	v_fma_f64 v[2:3], v[17:18], s[2:3], v[2:3]
	v_fma_f64 v[4:5], v[17:18], s[8:9], v[4:5]
	v_fma_f64 v[11:12], v[21:22], s[8:9], v[19:20]
	v_fma_f64 v[6:7], v[21:22], s[2:3], v[6:7]
	s_delay_alu instid0(VALU_DEP_4) | instskip(SKIP_1) | instid1(VALU_DEP_4)
	v_fma_f64 v[17:18], v[9:10], s[12:13], v[2:3]
	v_add_f64 v[2:3], v[52:53], -v[48:49]
	v_fma_f64 v[19:20], v[0:1], s[12:13], v[11:12]
	s_delay_alu instid0(VALU_DEP_4) | instskip(SKIP_4) | instid1(VALU_DEP_4)
	v_fma_f64 v[23:24], v[0:1], s[12:13], v[6:7]
	v_add_f64 v[0:1], v[42:43], -v[50:51]
	v_fma_f64 v[21:22], v[9:10], s[12:13], v[4:5]
	v_add_f64 v[4:5], v[54:55], -v[46:47]
	v_add_f64 v[6:7], v[44:45], v[46:47]
	v_add_f64 v[0:1], v[0:1], v[2:3]
	v_add_f64 v[2:3], v[40:41], -v[44:45]
	s_waitcnt lgkmcnt(0)
	s_delay_alu instid0(VALU_DEP_3) | instskip(NEXT) | instid1(VALU_DEP_2)
	v_fma_f64 v[6:7], v[6:7], -0.5, v[27:28]
	v_add_f64 v[2:3], v[2:3], v[4:5]
	v_add_f64 v[4:5], v[50:51], v[48:49]
	s_delay_alu instid0(VALU_DEP_3) | instskip(SKIP_1) | instid1(VALU_DEP_3)
	v_fma_f64 v[11:12], v[35:36], s[16:17], v[6:7]
	v_fma_f64 v[6:7], v[35:36], s[14:15], v[6:7]
	v_fma_f64 v[4:5], v[4:5], -0.5, v[25:26]
	s_delay_alu instid0(VALU_DEP_3) | instskip(NEXT) | instid1(VALU_DEP_3)
	v_fma_f64 v[11:12], v[37:38], s[8:9], v[11:12]
	v_fma_f64 v[6:7], v[37:38], s[2:3], v[6:7]
	s_delay_alu instid0(VALU_DEP_3) | instskip(SKIP_1) | instid1(VALU_DEP_4)
	v_fma_f64 v[9:10], v[29:30], s[14:15], v[4:5]
	v_fma_f64 v[4:5], v[29:30], s[16:17], v[4:5]
	;; [unrolled: 1-line block ×3, first 2 shown]
	s_delay_alu instid0(VALU_DEP_4) | instskip(SKIP_3) | instid1(VALU_DEP_3)
	v_fma_f64 v[6:7], v[2:3], s[12:13], v[6:7]
	v_add_f64 v[2:3], v[40:41], v[54:55]
	v_fma_f64 v[9:10], v[33:34], s[2:3], v[9:10]
	v_fma_f64 v[4:5], v[33:34], s[8:9], v[4:5]
	v_fma_f64 v[2:3], v[2:3], -0.5, v[27:28]
	v_add_f64 v[27:28], v[27:28], v[40:41]
	v_add_f64 v[39:40], v[44:45], -v[40:41]
	v_fma_f64 v[9:10], v[0:1], s[12:13], v[9:10]
	v_fma_f64 v[4:5], v[0:1], s[12:13], v[4:5]
	v_add_f64 v[0:1], v[42:43], v[52:53]
	v_add_f64 v[27:28], v[27:28], v[44:45]
	v_add_f64 v[44:45], v[48:49], -v[52:53]
	s_delay_alu instid0(VALU_DEP_3) | instskip(SKIP_4) | instid1(VALU_DEP_4)
	v_fma_f64 v[0:1], v[0:1], -0.5, v[25:26]
	v_add_f64 v[25:26], v[25:26], v[42:43]
	v_add_f64 v[42:43], v[50:51], -v[42:43]
	v_add_f64 v[27:28], v[27:28], v[46:47]
	v_add_f64 v[46:47], v[46:47], -v[54:55]
	v_add_f64 v[25:26], v[25:26], v[50:51]
	s_delay_alu instid0(VALU_DEP_3) | instskip(NEXT) | instid1(VALU_DEP_3)
	v_add_f64 v[27:28], v[27:28], v[54:55]
	v_add_f64 v[46:47], v[39:40], v[46:47]
	s_delay_alu instid0(VALU_DEP_3)
	v_add_f64 v[25:26], v[25:26], v[48:49]
	v_fma_f64 v[48:49], v[33:34], s[16:17], v[0:1]
	v_fma_f64 v[0:1], v[33:34], s[14:15], v[0:1]
	;; [unrolled: 1-line block ×4, first 2 shown]
	v_add_f64 v[37:38], v[42:43], v[44:45]
	v_add_f64 v[25:26], v[25:26], v[52:53]
	v_fma_f64 v[39:40], v[29:30], s[2:3], v[48:49]
	v_fma_f64 v[0:1], v[29:30], s[8:9], v[0:1]
	;; [unrolled: 1-line block ×4, first 2 shown]
	v_add_f64 v[33:34], v[104:105], v[31:32]
	ds_load_b128 v[48:51], v8 offset:8000
	v_fma_f64 v[40:41], v[37:38], s[12:13], v[39:40]
	v_fma_f64 v[44:45], v[37:38], s[12:13], v[0:1]
	v_fma_f64 v[42:43], v[46:47], s[12:13], v[29:30]
	v_fma_f64 v[46:47], v[46:47], s[12:13], v[2:3]
	v_add_f64 v[0:1], v[186:187], -v[130:131]
	v_add_f64 v[2:3], v[63:64], -v[56:57]
	;; [unrolled: 1-line block ×3, first 2 shown]
	s_waitcnt lgkmcnt(0)
	v_fma_f64 v[33:34], v[33:34], -0.5, v[50:51]
	v_add_f64 v[38:39], v[72:73], -v[74:75]
	s_delay_alu instid0(VALU_DEP_4) | instskip(SKIP_1) | instid1(VALU_DEP_4)
	v_add_f64 v[0:1], v[0:1], v[2:3]
	v_add_f64 v[2:3], v[72:73], -v[104:105]
	v_fma_f64 v[52:53], v[100:101], s[14:15], v[33:34]
	v_fma_f64 v[33:34], v[100:101], s[16:17], v[33:34]
	s_delay_alu instid0(VALU_DEP_3) | instskip(SKIP_1) | instid1(VALU_DEP_4)
	v_add_f64 v[2:3], v[2:3], v[29:30]
	v_add_f64 v[29:30], v[130:131], v[56:57]
	v_fma_f64 v[54:55], v[102:103], s[8:9], v[52:53]
	s_delay_alu instid0(VALU_DEP_4) | instskip(NEXT) | instid1(VALU_DEP_3)
	v_fma_f64 v[33:34], v[102:103], s[2:3], v[33:34]
	v_fma_f64 v[29:30], v[29:30], -0.5, v[48:49]
	s_delay_alu instid0(VALU_DEP_3) | instskip(NEXT) | instid1(VALU_DEP_3)
	v_fma_f64 v[54:55], v[2:3], s[12:13], v[54:55]
	v_fma_f64 v[2:3], v[2:3], s[12:13], v[33:34]
	v_add_f64 v[33:34], v[72:73], v[74:75]
	s_delay_alu instid0(VALU_DEP_4) | instskip(SKIP_1) | instid1(VALU_DEP_3)
	v_fma_f64 v[35:36], v[38:39], s[16:17], v[29:30]
	v_fma_f64 v[29:30], v[38:39], s[14:15], v[29:30]
	v_fma_f64 v[149:150], v[33:34], -0.5, v[50:51]
	v_add_f64 v[33:34], v[48:49], v[130:131]
	s_delay_alu instid0(VALU_DEP_4) | instskip(NEXT) | instid1(VALU_DEP_4)
	v_fma_f64 v[35:36], v[65:66], s[2:3], v[35:36]
	v_fma_f64 v[29:30], v[65:66], s[8:9], v[29:30]
	s_delay_alu instid0(VALU_DEP_3) | instskip(NEXT) | instid1(VALU_DEP_3)
	v_add_f64 v[33:34], v[33:34], v[186:187]
	v_fma_f64 v[52:53], v[0:1], s[12:13], v[35:36]
	v_add_f64 v[35:36], v[50:51], v[104:105]
	s_delay_alu instid0(VALU_DEP_4)
	v_fma_f64 v[0:1], v[0:1], s[12:13], v[29:30]
	v_add_f64 v[29:30], v[186:187], v[63:64]
	v_add_f64 v[33:34], v[33:34], v[63:64]
	v_add_f64 v[50:51], v[104:105], -v[72:73]
	v_add_f64 v[62:63], v[56:57], -v[63:64]
	v_add_f64 v[35:36], v[35:36], v[72:73]
	v_fma_f64 v[29:30], v[29:30], -0.5, v[48:49]
	v_add_f64 v[48:49], v[130:131], -v[186:187]
	s_delay_alu instid0(VALU_DEP_3) | instskip(SKIP_1) | instid1(VALU_DEP_4)
	v_add_f64 v[36:37], v[35:36], v[74:75]
	v_add_f64 v[34:35], v[33:34], v[56:57]
	v_fma_f64 v[56:57], v[65:66], s[14:15], v[29:30]
	v_fma_f64 v[29:30], v[65:66], s[16:17], v[29:30]
	;; [unrolled: 1-line block ×4, first 2 shown]
	v_add_f64 v[48:49], v[48:49], v[62:63]
	v_add_f64 v[36:37], v[36:37], v[31:32]
	v_add_f64 v[31:32], v[31:32], -v[74:75]
	s_delay_alu instid0(VALU_DEP_4) | instskip(NEXT) | instid1(VALU_DEP_2)
	v_fma_f64 v[62:63], v[100:101], s[2:3], v[66:67]
	v_add_f64 v[50:51], v[50:51], v[31:32]
	v_fma_f64 v[31:32], v[38:39], s[2:3], v[56:57]
	v_fma_f64 v[56:57], v[100:101], s[8:9], v[64:65]
	;; [unrolled: 1-line block ×3, first 2 shown]
	s_delay_alu instid0(VALU_DEP_3) | instskip(NEXT) | instid1(VALU_DEP_3)
	v_fma_f64 v[29:30], v[48:49], s[12:13], v[31:32]
	v_fma_f64 v[31:32], v[50:51], s[12:13], v[56:57]
	s_delay_alu instid0(VALU_DEP_3)
	v_fma_f64 v[48:49], v[48:49], s[12:13], v[38:39]
	v_fma_f64 v[50:51], v[50:51], s[12:13], v[62:63]
	ds_store_b128 v8, v[88:91]
	ds_store_b128 v8, v[76:79] offset:2000
	ds_store_b128 v8, v[13:16] offset:4000
	;; [unrolled: 1-line block ×24, first 2 shown]
	v_add_co_u32 v0, vcc_lo, 0xc000, v136
	v_add_co_ci_u32_e32 v1, vcc_lo, 0, v180, vcc_lo
	s_waitcnt lgkmcnt(0)
	s_waitcnt_vscnt null, 0x0
	s_barrier
	buffer_gl0_inv
	global_load_b128 v[4:7], v[0:1], off offset:848
	ds_load_b128 v[0:3], v8
	v_add_co_u32 v85, vcc_lo, 0xe000, v136
	v_add_co_ci_u32_e32 v86, vcc_lo, 0, v180, vcc_lo
	v_add_co_u32 v33, vcc_lo, 0x11000, v136
	v_add_co_ci_u32_e32 v34, vcc_lo, 0, v180, vcc_lo
	;; [unrolled: 2-line block ×9, first 2 shown]
	s_waitcnt vmcnt(0) lgkmcnt(0)
	v_mul_f64 v[9:10], v[2:3], v[6:7]
	v_mul_f64 v[6:7], v[0:1], v[6:7]
	s_delay_alu instid0(VALU_DEP_2) | instskip(NEXT) | instid1(VALU_DEP_2)
	v_fma_f64 v[0:1], v[0:1], v[4:5], -v[9:10]
	v_fma_f64 v[2:3], v[2:3], v[4:5], v[6:7]
	global_load_b128 v[4:7], v[85:86], off offset:2656
	ds_load_b128 v[9:12], v8 offset:10000
	s_waitcnt vmcnt(0) lgkmcnt(0)
	v_mul_f64 v[13:14], v[11:12], v[6:7]
	v_mul_f64 v[6:7], v[9:10], v[6:7]
	s_delay_alu instid0(VALU_DEP_2) | instskip(NEXT) | instid1(VALU_DEP_2)
	v_fma_f64 v[9:10], v[9:10], v[4:5], -v[13:14]
	v_fma_f64 v[11:12], v[11:12], v[4:5], v[6:7]
	global_load_b128 v[4:7], v[33:34], off offset:368
	ds_load_b128 v[13:16], v8 offset:20000
	;; [unrolled: 8-line block ×14, first 2 shown]
	s_waitcnt vmcnt(0) lgkmcnt(0)
	v_mul_f64 v[65:66], v[63:64], v[6:7]
	v_mul_f64 v[6:7], v[61:62], v[6:7]
	s_delay_alu instid0(VALU_DEP_2) | instskip(NEXT) | instid1(VALU_DEP_2)
	v_fma_f64 v[61:62], v[61:62], v[4:5], -v[65:66]
	v_fma_f64 v[63:64], v[63:64], v[4:5], v[6:7]
	v_add_co_u32 v4, vcc_lo, 0xd000, v136
	v_add_co_ci_u32_e32 v5, vcc_lo, 0, v180, vcc_lo
	ds_load_b128 v[65:68], v8 offset:6000
	v_add_co_u32 v89, vcc_lo, 0x10000, v136
	global_load_b128 v[4:7], v[4:5], off offset:2752
	v_add_co_ci_u32_e32 v90, vcc_lo, 0, v180, vcc_lo
	v_add_co_u32 v101, vcc_lo, 0x17000, v136
	v_add_co_ci_u32_e32 v102, vcc_lo, 0, v180, vcc_lo
	s_waitcnt vmcnt(0) lgkmcnt(0)
	v_mul_f64 v[69:70], v[67:68], v[6:7]
	v_mul_f64 v[6:7], v[65:66], v[6:7]
	s_delay_alu instid0(VALU_DEP_2) | instskip(NEXT) | instid1(VALU_DEP_2)
	v_fma_f64 v[65:66], v[65:66], v[4:5], -v[69:70]
	v_fma_f64 v[67:68], v[67:68], v[4:5], v[6:7]
	global_load_b128 v[4:7], v[89:90], off offset:464
	ds_load_b128 v[69:72], v8 offset:16000
	s_waitcnt vmcnt(0) lgkmcnt(0)
	v_mul_f64 v[75:76], v[71:72], v[6:7]
	v_mul_f64 v[6:7], v[69:70], v[6:7]
	s_delay_alu instid0(VALU_DEP_2) | instskip(NEXT) | instid1(VALU_DEP_2)
	v_fma_f64 v[69:70], v[69:70], v[4:5], -v[75:76]
	v_fma_f64 v[71:72], v[71:72], v[4:5], v[6:7]
	global_load_b128 v[4:7], v[73:74], off offset:2272
	ds_load_b128 v[73:76], v8 offset:26000
	;; [unrolled: 8-line block ×9, first 2 shown]
	s_waitcnt vmcnt(0) lgkmcnt(0)
	v_mul_f64 v[105:106], v[103:104], v[6:7]
	v_mul_f64 v[6:7], v[101:102], v[6:7]
	s_delay_alu instid0(VALU_DEP_2) | instskip(NEXT) | instid1(VALU_DEP_2)
	v_fma_f64 v[101:102], v[101:102], v[4:5], -v[105:106]
	v_fma_f64 v[103:104], v[103:104], v[4:5], v[6:7]
	ds_store_b128 v8, v[0:3]
	ds_store_b128 v8, v[9:12] offset:10000
	ds_store_b128 v8, v[13:16] offset:20000
	;; [unrolled: 1-line block ×24, first 2 shown]
	s_waitcnt lgkmcnt(0)
	s_barrier
	buffer_gl0_inv
	ds_load_b128 v[4:7], v8 offset:10000
	ds_load_b128 v[79:82], v8
	ds_load_b128 v[9:12], v8 offset:20000
	s_waitcnt lgkmcnt(1)
	v_add_f64 v[13:14], v[79:80], v[4:5]
	s_waitcnt lgkmcnt(0)
	v_add_f64 v[212:213], v[4:5], -v[9:10]
	v_add_f64 v[206:207], v[9:10], -v[4:5]
	;; [unrolled: 1-line block ×4, first 2 shown]
	v_add_f64 v[17:18], v[13:14], v[9:10]
	v_add_f64 v[13:14], v[81:82], v[6:7]
	s_delay_alu instid0(VALU_DEP_1)
	v_add_f64 v[19:20], v[13:14], v[11:12]
	ds_load_b128 v[13:16], v8 offset:30000
	s_waitcnt lgkmcnt(0)
	v_add_f64 v[208:209], v[9:10], v[13:14]
	v_add_f64 v[51:52], v[11:12], -v[15:16]
	v_add_f64 v[194:195], v[11:12], v[15:16]
	v_add_f64 v[59:60], v[9:10], -v[13:14]
	ds_load_b128 v[9:12], v8 offset:40000
	s_waitcnt lgkmcnt(0)
	v_add_f64 v[65:66], v[6:7], -v[11:12]
	v_add_f64 v[151:152], v[4:5], v[9:10]
	v_add_f64 v[69:70], v[4:5], -v[9:10]
	v_add_f64 v[155:156], v[6:7], v[11:12]
	v_add_f64 v[4:5], v[17:18], v[13:14]
	;; [unrolled: 1-line block ×3, first 2 shown]
	v_add_f64 v[190:191], v[9:10], -v[13:14]
	v_add_f64 v[2:3], v[13:14], -v[9:10]
	;; [unrolled: 1-line block ×4, first 2 shown]
	v_add_f64 v[4:5], v[4:5], v[9:10]
	v_add_f64 v[6:7], v[6:7], v[11:12]
	ds_load_b128 v[9:12], v8 offset:2000
	ds_load_b128 v[13:16], v8 offset:12000
	ds_load_b128 v[17:20], v8 offset:22000
	v_add_f64 v[49:50], v[173:174], v[49:50]
	s_waitcnt lgkmcnt(1)
	v_add_f64 v[21:22], v[9:10], v[13:14]
	s_waitcnt lgkmcnt(0)
	v_add_f64 v[192:193], v[13:14], -v[17:18]
	v_add_f64 v[171:172], v[17:18], -v[13:14]
	v_add_f64 v[182:183], v[15:16], -v[19:20]
	v_add_f64 v[121:122], v[19:20], -v[15:16]
	v_add_f64 v[25:26], v[21:22], v[17:18]
	v_add_f64 v[21:22], v[11:12], v[15:16]
	s_delay_alu instid0(VALU_DEP_1)
	v_add_f64 v[27:28], v[21:22], v[19:20]
	ds_load_b128 v[21:24], v8 offset:32000
	s_waitcnt lgkmcnt(0)
	v_add_f64 v[163:164], v[17:18], v[21:22]
	v_add_f64 v[83:84], v[19:20], -v[23:24]
	v_add_f64 v[143:144], v[19:20], v[23:24]
	v_add_f64 v[91:92], v[17:18], -v[21:22]
	ds_load_b128 v[17:20], v8 offset:42000
	s_waitcnt lgkmcnt(0)
	v_add_f64 v[97:98], v[15:16], -v[19:20]
	v_add_f64 v[109:110], v[13:14], v[17:18]
	v_add_f64 v[101:102], v[13:14], -v[17:18]
	v_add_f64 v[117:118], v[15:16], v[19:20]
	v_add_f64 v[13:14], v[25:26], v[21:22]
	v_add_f64 v[15:16], v[27:28], v[23:24]
	v_add_f64 v[141:142], v[17:18], -v[21:22]
	v_add_f64 v[107:108], v[21:22], -v[17:18]
	v_add_f64 v[132:133], v[19:20], -v[23:24]
	v_add_f64 v[111:112], v[23:24], -v[19:20]
	v_add_f64 v[61:62], v[13:14], v[17:18]
	v_add_f64 v[63:64], v[15:16], v[19:20]
	ds_load_b128 v[17:20], v8 offset:14000
	ds_load_b128 v[21:24], v8 offset:4000
	ds_load_b128 v[25:28], v8 offset:24000
	s_waitcnt lgkmcnt(1)
	v_add_f64 v[29:30], v[21:22], v[17:18]
	s_waitcnt lgkmcnt(0)
	v_add_f64 v[123:124], v[17:18], -v[25:26]
	v_add_f64 v[119:120], v[25:26], -v[17:18]
	v_add_f64 v[180:181], v[19:20], -v[27:28]
	v_add_f64 v[186:187], v[27:28], -v[19:20]
	v_add_f64 v[33:34], v[29:30], v[25:26]
	v_add_f64 v[29:30], v[23:24], v[19:20]
	s_delay_alu instid0(VALU_DEP_1)
	v_add_f64 v[35:36], v[29:30], v[27:28]
	ds_load_b128 v[29:32], v8 offset:34000
	s_waitcnt lgkmcnt(0)
	v_add_f64 v[113:114], v[25:26], v[29:30]
	v_add_f64 v[115:116], v[27:28], -v[31:32]
	v_add_f64 v[130:131], v[27:28], v[31:32]
	v_add_f64 v[149:150], v[25:26], -v[29:30]
	ds_load_b128 v[25:28], v8 offset:44000
	s_waitcnt lgkmcnt(0)
	v_add_f64 v[13:14], v[19:20], -v[27:28]
	v_add_f64 v[99:100], v[17:18], v[25:26]
	v_add_f64 v[15:16], v[17:18], -v[25:26]
	v_add_f64 v[134:135], v[19:20], v[27:28]
	v_add_f64 v[17:18], v[33:34], v[29:30]
	v_add_f64 v[19:20], v[35:36], v[31:32]
	v_add_f64 v[105:106], v[25:26], -v[29:30]
	v_add_f64 v[147:148], v[29:30], -v[25:26]
	v_add_f64 v[103:104], v[27:28], -v[31:32]
	v_add_f64 v[145:146], v[31:32], -v[27:28]
	v_add_f64 v[159:160], v[17:18], v[25:26]
	v_add_f64 v[161:162], v[19:20], v[27:28]
	ds_load_b128 v[25:28], v8 offset:6000
	ds_load_b128 v[29:32], v8 offset:16000
	ds_load_b128 v[33:36], v8 offset:26000
	;; [unrolled: 34-line block ×3, first 2 shown]
	s_waitcnt lgkmcnt(1)
	v_add_f64 v[45:46], v[33:34], v[37:38]
	s_waitcnt lgkmcnt(0)
	v_add_f64 v[85:86], v[37:38], -v[41:42]
	v_add_f64 v[200:201], v[41:42], -v[37:38]
	;; [unrolled: 1-line block ×4, first 2 shown]
	v_add_f64 v[0:1], v[45:46], v[41:42]
	v_add_f64 v[45:46], v[35:36], v[39:40]
	s_delay_alu instid0(VALU_DEP_1)
	v_add_f64 v[184:185], v[45:46], v[43:44]
	ds_load_b128 v[45:48], v8 offset:38000
	s_waitcnt lgkmcnt(0)
	v_add_f64 v[75:76], v[41:42], v[45:46]
	v_add_f64 v[202:203], v[43:44], -v[47:48]
	v_add_f64 v[73:74], v[43:44], v[47:48]
	v_add_f64 v[198:199], v[41:42], -v[45:46]
	ds_load_b128 v[41:44], v8 offset:48000
	v_add_f64 v[0:1], v[0:1], v[45:46]
	s_waitcnt lgkmcnt(0)
	s_barrier
	buffer_gl0_inv
	v_add_f64 v[17:18], v[39:40], -v[43:44]
	v_add_f64 v[222:223], v[39:40], v[43:44]
	v_add_f64 v[39:40], v[184:185], v[47:48]
	v_add_f64 v[220:221], v[43:44], -v[47:48]
	v_add_f64 v[67:68], v[47:48], -v[43:44]
	v_add_f64 v[224:225], v[37:38], v[41:42]
	v_add_f64 v[19:20], v[37:38], -v[41:42]
	v_add_f64 v[184:185], v[41:42], -v[45:46]
	;; [unrolled: 1-line block ×3, first 2 shown]
	v_fma_f64 v[45:46], v[208:209], -0.5, v[79:80]
	v_fma_f64 v[47:48], v[194:195], -0.5, v[81:82]
	v_add_f64 v[37:38], v[0:1], v[41:42]
	v_fma_f64 v[41:42], v[151:152], -0.5, v[79:80]
	v_add_f64 v[79:80], v[206:207], v[2:3]
	v_add_f64 v[39:40], v[39:40], v[43:44]
	v_fma_f64 v[43:44], v[155:156], -0.5, v[81:82]
	s_delay_alu instid0(VALU_DEP_4) | instskip(SKIP_1) | instid1(VALU_DEP_3)
	v_fma_f64 v[0:1], v[51:52], s[14:15], v[41:42]
	v_fma_f64 v[41:42], v[51:52], s[16:17], v[41:42]
	;; [unrolled: 1-line block ×4, first 2 shown]
	s_delay_alu instid0(VALU_DEP_4) | instskip(NEXT) | instid1(VALU_DEP_4)
	v_fma_f64 v[0:1], v[65:66], s[8:9], v[0:1]
	v_fma_f64 v[41:42], v[65:66], s[2:3], v[41:42]
	s_delay_alu instid0(VALU_DEP_4) | instskip(NEXT) | instid1(VALU_DEP_4)
	v_fma_f64 v[2:3], v[69:70], s[2:3], v[2:3]
	v_fma_f64 v[43:44], v[69:70], s[8:9], v[43:44]
	;; [unrolled: 3-line block ×3, first 2 shown]
	v_add_f64 v[79:80], v[210:211], v[188:189]
	v_fma_f64 v[2:3], v[49:50], s[12:13], v[2:3]
	v_fma_f64 v[43:44], v[49:50], s[12:13], v[43:44]
	;; [unrolled: 1-line block ×6, first 2 shown]
	v_add_f64 v[69:70], v[212:213], v[190:191]
	v_fma_f64 v[49:50], v[51:52], s[8:9], v[49:50]
	v_fma_f64 v[51:52], v[51:52], s[2:3], v[45:46]
	;; [unrolled: 1-line block ×4, first 2 shown]
	s_delay_alu instid0(VALU_DEP_4) | instskip(NEXT) | instid1(VALU_DEP_4)
	v_fma_f64 v[45:46], v[69:70], s[12:13], v[49:50]
	v_fma_f64 v[49:50], v[69:70], s[12:13], v[51:52]
	s_delay_alu instid0(VALU_DEP_4) | instskip(NEXT) | instid1(VALU_DEP_4)
	v_fma_f64 v[47:48], v[79:80], s[12:13], v[65:66]
	v_fma_f64 v[51:52], v[79:80], s[12:13], v[59:60]
	scratch_load_b32 v59, off, off offset:940 ; 4-byte Folded Reload
	s_waitcnt vmcnt(0)
	ds_store_b128 v59, v[4:7]
	ds_store_b128 v59, v[45:48] offset:16
	ds_store_b128 v59, v[0:3] offset:32
	;; [unrolled: 1-line block ×4, first 2 shown]
	v_fma_f64 v[4:5], v[109:110], -0.5, v[9:10]
	v_fma_f64 v[6:7], v[117:118], -0.5, v[11:12]
	;; [unrolled: 1-line block ×4, first 2 shown]
	v_add_f64 v[11:12], v[171:172], v[107:108]
	v_add_f64 v[43:44], v[121:122], v[111:112]
	;; [unrolled: 1-line block ×4, first 2 shown]
	v_fma_f64 v[0:1], v[83:84], s[14:15], v[4:5]
	v_fma_f64 v[4:5], v[83:84], s[16:17], v[4:5]
	v_fma_f64 v[2:3], v[91:92], s[16:17], v[6:7]
	v_fma_f64 v[6:7], v[91:92], s[14:15], v[6:7]
	s_delay_alu instid0(VALU_DEP_4) | instskip(NEXT) | instid1(VALU_DEP_4)
	v_fma_f64 v[0:1], v[97:98], s[8:9], v[0:1]
	v_fma_f64 v[4:5], v[97:98], s[2:3], v[4:5]
	s_delay_alu instid0(VALU_DEP_4) | instskip(NEXT) | instid1(VALU_DEP_4)
	v_fma_f64 v[2:3], v[101:102], s[2:3], v[2:3]
	v_fma_f64 v[6:7], v[101:102], s[8:9], v[6:7]
	;; [unrolled: 3-line block ×3, first 2 shown]
	v_fma_f64 v[11:12], v[97:98], s[16:17], v[9:10]
	v_fma_f64 v[9:10], v[97:98], s[14:15], v[9:10]
	;; [unrolled: 1-line block ×8, first 2 shown]
	s_delay_alu instid0(VALU_DEP_4) | instskip(NEXT) | instid1(VALU_DEP_4)
	v_fma_f64 v[43:44], v[91:92], s[2:3], v[43:44]
	v_fma_f64 v[51:52], v[91:92], s[8:9], v[41:42]
	s_delay_alu instid0(VALU_DEP_4) | instskip(NEXT) | instid1(VALU_DEP_4)
	v_fma_f64 v[9:10], v[45:46], s[12:13], v[11:12]
	v_fma_f64 v[41:42], v[45:46], s[12:13], v[49:50]
	scratch_load_b32 v45, off, off offset:868 ; 4-byte Folded Reload
	v_fma_f64 v[11:12], v[47:48], s[12:13], v[43:44]
	v_fma_f64 v[43:44], v[47:48], s[12:13], v[51:52]
	s_waitcnt vmcnt(0)
	ds_store_b128 v45, v[61:64]
	ds_store_b128 v45, v[9:12] offset:16
	ds_store_b128 v45, v[0:3] offset:32
	;; [unrolled: 1-line block ×4, first 2 shown]
	v_fma_f64 v[4:5], v[99:100], -0.5, v[21:22]
	v_fma_f64 v[9:10], v[113:114], -0.5, v[21:22]
	;; [unrolled: 1-line block ×3, first 2 shown]
	v_add_f64 v[21:22], v[119:120], v[147:148]
	v_fma_f64 v[11:12], v[130:131], -0.5, v[23:24]
	v_add_f64 v[23:24], v[186:187], v[145:146]
	v_fma_f64 v[0:1], v[115:116], s[14:15], v[4:5]
	v_fma_f64 v[4:5], v[115:116], s[16:17], v[4:5]
	;; [unrolled: 1-line block ×4, first 2 shown]
	s_delay_alu instid0(VALU_DEP_4) | instskip(NEXT) | instid1(VALU_DEP_4)
	v_fma_f64 v[0:1], v[13:14], s[8:9], v[0:1]
	v_fma_f64 v[4:5], v[13:14], s[2:3], v[4:5]
	s_delay_alu instid0(VALU_DEP_4) | instskip(NEXT) | instid1(VALU_DEP_4)
	v_fma_f64 v[2:3], v[15:16], s[2:3], v[2:3]
	v_fma_f64 v[6:7], v[15:16], s[8:9], v[6:7]
	;; [unrolled: 3-line block ×3, first 2 shown]
	v_fma_f64 v[21:22], v[13:14], s[16:17], v[9:10]
	v_fma_f64 v[9:10], v[13:14], s[14:15], v[9:10]
	;; [unrolled: 1-line block ×4, first 2 shown]
	v_add_f64 v[15:16], v[123:124], v[105:106]
	v_fma_f64 v[2:3], v[23:24], s[12:13], v[2:3]
	v_fma_f64 v[6:7], v[23:24], s[12:13], v[6:7]
	v_add_f64 v[23:24], v[180:181], v[103:104]
	v_fma_f64 v[21:22], v[115:116], s[8:9], v[21:22]
	v_fma_f64 v[41:42], v[115:116], s[2:3], v[9:10]
	;; [unrolled: 1-line block ×4, first 2 shown]
	s_delay_alu instid0(VALU_DEP_4)
	v_fma_f64 v[9:10], v[15:16], s[12:13], v[21:22]
	scratch_load_b32 v21, off, off offset:800 ; 4-byte Folded Reload
	v_fma_f64 v[11:12], v[23:24], s[12:13], v[13:14]
	v_fma_f64 v[13:14], v[15:16], s[12:13], v[41:42]
	;; [unrolled: 1-line block ×3, first 2 shown]
	s_waitcnt vmcnt(0)
	ds_store_b128 v21, v[159:162]
	ds_store_b128 v21, v[9:12] offset:16
	ds_store_b128 v21, v[0:3] offset:32
	;; [unrolled: 1-line block ×4, first 2 shown]
	v_fma_f64 v[4:5], v[167:168], -0.5, v[25:26]
	v_fma_f64 v[9:10], v[95:96], -0.5, v[25:26]
	v_add_f64 v[13:14], v[93:94], v[177:178]
	v_add_f64 v[21:22], v[204:205], v[89:90]
	v_fma_f64 v[6:7], v[165:166], -0.5, v[27:28]
	v_fma_f64 v[11:12], v[157:158], -0.5, v[27:28]
	v_add_f64 v[15:16], v[246:247], v[175:176]
	v_add_f64 v[23:24], v[169:170], v[87:88]
	v_fma_f64 v[0:1], v[153:154], s[14:15], v[4:5]
	v_fma_f64 v[4:5], v[153:154], s[16:17], v[4:5]
	v_fma_f64 v[2:3], v[57:58], s[16:17], v[6:7]
	v_fma_f64 v[6:7], v[57:58], s[14:15], v[6:7]
	s_delay_alu instid0(VALU_DEP_4) | instskip(NEXT) | instid1(VALU_DEP_4)
	v_fma_f64 v[0:1], v[53:54], s[8:9], v[0:1]
	v_fma_f64 v[4:5], v[53:54], s[2:3], v[4:5]
	s_delay_alu instid0(VALU_DEP_4) | instskip(NEXT) | instid1(VALU_DEP_4)
	v_fma_f64 v[2:3], v[55:56], s[2:3], v[2:3]
	v_fma_f64 v[6:7], v[55:56], s[8:9], v[6:7]
	;; [unrolled: 3-line block ×3, first 2 shown]
	v_fma_f64 v[13:14], v[53:54], s[16:17], v[9:10]
	v_fma_f64 v[9:10], v[53:54], s[14:15], v[9:10]
	v_fma_f64 v[2:3], v[15:16], s[12:13], v[2:3]
	v_fma_f64 v[6:7], v[15:16], s[12:13], v[6:7]
	v_fma_f64 v[15:16], v[55:56], s[14:15], v[11:12]
	v_fma_f64 v[11:12], v[55:56], s[16:17], v[11:12]
	v_fma_f64 v[13:14], v[153:154], s[8:9], v[13:14]
	v_fma_f64 v[25:26], v[153:154], s[2:3], v[9:10]
	s_delay_alu instid0(VALU_DEP_4) | instskip(NEXT) | instid1(VALU_DEP_4)
	v_fma_f64 v[15:16], v[57:58], s[2:3], v[15:16]
	v_fma_f64 v[27:28], v[57:58], s[8:9], v[11:12]
	s_delay_alu instid0(VALU_DEP_4) | instskip(NEXT) | instid1(VALU_DEP_4)
	v_fma_f64 v[9:10], v[21:22], s[12:13], v[13:14]
	v_fma_f64 v[13:14], v[21:22], s[12:13], v[25:26]
	scratch_load_b32 v21, off, off offset:732 ; 4-byte Folded Reload
	v_fma_f64 v[11:12], v[23:24], s[12:13], v[15:16]
	v_fma_f64 v[15:16], v[23:24], s[12:13], v[27:28]
	s_waitcnt vmcnt(0)
	ds_store_b128 v21, v[29:32]
	ds_store_b128 v21, v[9:12] offset:16
	ds_store_b128 v21, v[0:3] offset:32
	;; [unrolled: 1-line block ×4, first 2 shown]
	v_fma_f64 v[4:5], v[224:225], -0.5, v[33:34]
	v_fma_f64 v[6:7], v[222:223], -0.5, v[35:36]
	;; [unrolled: 1-line block ×4, first 2 shown]
	v_add_f64 v[13:14], v[200:201], v[71:72]
	v_add_f64 v[15:16], v[196:197], v[67:68]
	v_fma_f64 v[0:1], v[202:203], s[14:15], v[4:5]
	v_fma_f64 v[2:3], v[198:199], s[16:17], v[6:7]
	;; [unrolled: 1-line block ×4, first 2 shown]
	s_delay_alu instid0(VALU_DEP_4) | instskip(NEXT) | instid1(VALU_DEP_4)
	v_fma_f64 v[0:1], v[17:18], s[8:9], v[0:1]
	v_fma_f64 v[2:3], v[19:20], s[2:3], v[2:3]
	s_delay_alu instid0(VALU_DEP_4) | instskip(NEXT) | instid1(VALU_DEP_4)
	v_fma_f64 v[4:5], v[17:18], s[2:3], v[4:5]
	v_fma_f64 v[6:7], v[19:20], s[8:9], v[6:7]
	;; [unrolled: 3-line block ×4, first 2 shown]
	v_fma_f64 v[13:14], v[17:18], s[16:17], v[9:10]
	v_fma_f64 v[15:16], v[19:20], s[14:15], v[11:12]
	;; [unrolled: 1-line block ×4, first 2 shown]
	v_add_f64 v[17:18], v[85:86], v[184:185]
	v_add_f64 v[19:20], v[77:78], v[220:221]
	v_fma_f64 v[13:14], v[202:203], s[8:9], v[13:14]
	v_fma_f64 v[15:16], v[198:199], s[2:3], v[15:16]
	;; [unrolled: 1-line block ×4, first 2 shown]
	s_delay_alu instid0(VALU_DEP_4) | instskip(NEXT) | instid1(VALU_DEP_4)
	v_fma_f64 v[9:10], v[17:18], s[12:13], v[13:14]
	v_fma_f64 v[11:12], v[19:20], s[12:13], v[15:16]
	s_delay_alu instid0(VALU_DEP_4) | instskip(NEXT) | instid1(VALU_DEP_4)
	v_fma_f64 v[13:14], v[17:18], s[12:13], v[21:22]
	v_fma_f64 v[15:16], v[19:20], s[12:13], v[23:24]
	ds_store_b128 v219, v[37:40]
	ds_store_b128 v219, v[9:12] offset:16
	ds_store_b128 v219, v[0:3] offset:32
	;; [unrolled: 1-line block ×4, first 2 shown]
	s_waitcnt lgkmcnt(0)
	s_barrier
	buffer_gl0_inv
	s_clause 0x1
	scratch_load_b128 v[9:12], off, off offset:408
	scratch_load_b128 v[17:20], off, off offset:504
	ds_load_b128 v[0:3], v8 offset:10000
	s_clause 0x3
	scratch_load_b128 v[26:29], off, off offset:552
	scratch_load_b128 v[36:39], off, off offset:616
	;; [unrolled: 1-line block ×4, first 2 shown]
	s_waitcnt vmcnt(5) lgkmcnt(0)
	v_mul_f64 v[4:5], v[11:12], v[2:3]
	s_delay_alu instid0(VALU_DEP_1)
	v_fma_f64 v[4:5], v[9:10], v[0:1], v[4:5]
	v_mul_f64 v[0:1], v[11:12], v[0:1]
	scratch_load_b128 v[11:14], off, off offset:424 ; 16-byte Folded Reload
	v_fma_f64 v[6:7], v[9:10], v[2:3], -v[0:1]
	ds_load_b128 v[0:3], v8 offset:20000
	s_waitcnt vmcnt(0) lgkmcnt(0)
	v_mul_f64 v[9:10], v[13:14], v[2:3]
	s_delay_alu instid0(VALU_DEP_1) | instskip(SKIP_1) | instid1(VALU_DEP_1)
	v_fma_f64 v[72:73], v[11:12], v[0:1], v[9:10]
	v_mul_f64 v[0:1], v[13:14], v[0:1]
	v_fma_f64 v[74:75], v[11:12], v[2:3], -v[0:1]
	scratch_load_b128 v[11:14], off, off offset:440 ; 16-byte Folded Reload
	ds_load_b128 v[0:3], v8 offset:30000
	s_waitcnt vmcnt(0) lgkmcnt(0)
	v_mul_f64 v[9:10], v[13:14], v[2:3]
	s_delay_alu instid0(VALU_DEP_1) | instskip(SKIP_1) | instid1(VALU_DEP_2)
	v_fma_f64 v[76:77], v[11:12], v[0:1], v[9:10]
	v_mul_f64 v[0:1], v[13:14], v[0:1]
	v_add_f64 v[96:97], v[72:73], -v[76:77]
	s_delay_alu instid0(VALU_DEP_2)
	v_fma_f64 v[82:83], v[11:12], v[2:3], -v[0:1]
	scratch_load_b128 v[11:14], off, off offset:456 ; 16-byte Folded Reload
	ds_load_b128 v[0:3], v8 offset:40000
	v_add_f64 v[92:93], v[74:75], -v[82:83]
	s_waitcnt vmcnt(0) lgkmcnt(0)
	v_mul_f64 v[9:10], v[13:14], v[2:3]
	s_delay_alu instid0(VALU_DEP_1) | instskip(SKIP_1) | instid1(VALU_DEP_2)
	v_fma_f64 v[84:85], v[11:12], v[0:1], v[9:10]
	v_mul_f64 v[0:1], v[13:14], v[0:1]
	v_add_f64 v[98:99], v[4:5], -v[84:85]
	s_delay_alu instid0(VALU_DEP_2)
	v_fma_f64 v[86:87], v[11:12], v[2:3], -v[0:1]
	scratch_load_b128 v[11:14], off, off offset:472 ; 16-byte Folded Reload
	ds_load_b128 v[0:3], v8 offset:12000
	v_add_f64 v[94:95], v[6:7], -v[86:87]
	s_waitcnt vmcnt(0) lgkmcnt(0)
	v_mul_f64 v[9:10], v[13:14], v[2:3]
	s_delay_alu instid0(VALU_DEP_1) | instskip(SKIP_1) | instid1(VALU_DEP_1)
	v_fma_f64 v[58:59], v[11:12], v[0:1], v[9:10]
	v_mul_f64 v[0:1], v[13:14], v[0:1]
	v_fma_f64 v[15:16], v[11:12], v[2:3], -v[0:1]
	scratch_load_b128 v[11:14], off, off offset:488 ; 16-byte Folded Reload
	ds_load_b128 v[0:3], v8 offset:22000
	s_waitcnt vmcnt(0) lgkmcnt(0)
	v_mul_f64 v[9:10], v[13:14], v[2:3]
	s_delay_alu instid0(VALU_DEP_1) | instskip(SKIP_1) | instid1(VALU_DEP_1)
	v_fma_f64 v[56:57], v[11:12], v[0:1], v[9:10]
	v_mul_f64 v[0:1], v[13:14], v[0:1]
	v_fma_f64 v[11:12], v[11:12], v[2:3], -v[0:1]
	ds_load_b128 v[0:3], v8 offset:32000
	s_waitcnt lgkmcnt(0)
	v_mul_f64 v[9:10], v[19:20], v[2:3]
	s_delay_alu instid0(VALU_DEP_1) | instskip(SKIP_1) | instid1(VALU_DEP_1)
	v_fma_f64 v[54:55], v[17:18], v[0:1], v[9:10]
	v_mul_f64 v[0:1], v[19:20], v[0:1]
	v_fma_f64 v[13:14], v[17:18], v[2:3], -v[0:1]
	scratch_load_b128 v[17:20], off, off offset:520 ; 16-byte Folded Reload
	ds_load_b128 v[0:3], v8 offset:42000
	s_waitcnt vmcnt(0) lgkmcnt(0)
	v_mul_f64 v[9:10], v[19:20], v[2:3]
	s_delay_alu instid0(VALU_DEP_1)
	v_fma_f64 v[9:10], v[17:18], v[0:1], v[9:10]
	v_mul_f64 v[0:1], v[19:20], v[0:1]
	scratch_load_b128 v[19:22], off, off offset:536 ; 16-byte Folded Reload
	v_fma_f64 v[78:79], v[17:18], v[2:3], -v[0:1]
	ds_load_b128 v[0:3], v8 offset:14000
	s_waitcnt vmcnt(0) lgkmcnt(0)
	v_mul_f64 v[17:18], v[21:22], v[2:3]
	s_delay_alu instid0(VALU_DEP_1) | instskip(SKIP_1) | instid1(VALU_DEP_1)
	v_fma_f64 v[34:35], v[19:20], v[0:1], v[17:18]
	v_mul_f64 v[0:1], v[21:22], v[0:1]
	v_fma_f64 v[24:25], v[19:20], v[2:3], -v[0:1]
	ds_load_b128 v[0:3], v8 offset:24000
	s_waitcnt lgkmcnt(0)
	v_mul_f64 v[17:18], v[28:29], v[2:3]
	s_delay_alu instid0(VALU_DEP_1) | instskip(SKIP_1) | instid1(VALU_DEP_1)
	v_fma_f64 v[20:21], v[26:27], v[0:1], v[17:18]
	v_mul_f64 v[0:1], v[28:29], v[0:1]
	v_fma_f64 v[32:33], v[26:27], v[2:3], -v[0:1]
	scratch_load_b128 v[26:29], off, off offset:568 ; 16-byte Folded Reload
	ds_load_b128 v[0:3], v8 offset:34000
	s_waitcnt vmcnt(0) lgkmcnt(0)
	v_mul_f64 v[17:18], v[28:29], v[2:3]
	s_delay_alu instid0(VALU_DEP_1) | instskip(SKIP_1) | instid1(VALU_DEP_1)
	v_fma_f64 v[44:45], v[26:27], v[0:1], v[17:18]
	v_mul_f64 v[0:1], v[28:29], v[0:1]
	v_fma_f64 v[22:23], v[26:27], v[2:3], -v[0:1]
	scratch_load_b128 v[26:29], off, off offset:584 ; 16-byte Folded Reload
	ds_load_b128 v[0:3], v8 offset:44000
	s_waitcnt vmcnt(0) lgkmcnt(0)
	v_mul_f64 v[17:18], v[28:29], v[2:3]
	s_delay_alu instid0(VALU_DEP_1)
	v_fma_f64 v[17:18], v[26:27], v[0:1], v[17:18]
	v_mul_f64 v[0:1], v[28:29], v[0:1]
	scratch_load_b128 v[28:31], off, off offset:600 ; 16-byte Folded Reload
	v_fma_f64 v[42:43], v[26:27], v[2:3], -v[0:1]
	ds_load_b128 v[0:3], v8 offset:16000
	s_waitcnt vmcnt(0) lgkmcnt(0)
	v_mul_f64 v[26:27], v[30:31], v[2:3]
	s_delay_alu instid0(VALU_DEP_1) | instskip(SKIP_1) | instid1(VALU_DEP_1)
	v_fma_f64 v[46:47], v[28:29], v[0:1], v[26:27]
	v_mul_f64 v[0:1], v[30:31], v[0:1]
	v_fma_f64 v[30:31], v[28:29], v[2:3], -v[0:1]
	ds_load_b128 v[0:3], v8 offset:26000
	s_waitcnt lgkmcnt(0)
	v_mul_f64 v[26:27], v[38:39], v[2:3]
	s_delay_alu instid0(VALU_DEP_1) | instskip(SKIP_1) | instid1(VALU_DEP_1)
	v_fma_f64 v[130:131], v[36:37], v[0:1], v[26:27]
	v_mul_f64 v[0:1], v[38:39], v[0:1]
	v_fma_f64 v[26:27], v[36:37], v[2:3], -v[0:1]
	scratch_load_b128 v[36:39], off, off offset:632 ; 16-byte Folded Reload
	ds_load_b128 v[0:3], v8 offset:36000
	s_waitcnt vmcnt(0) lgkmcnt(0)
	v_mul_f64 v[28:29], v[38:39], v[2:3]
	s_delay_alu instid0(VALU_DEP_1)
	v_fma_f64 v[28:29], v[36:37], v[0:1], v[28:29]
	v_mul_f64 v[0:1], v[38:39], v[0:1]
	scratch_load_b128 v[38:41], off, off offset:648 ; 16-byte Folded Reload
	v_fma_f64 v[80:81], v[36:37], v[2:3], -v[0:1]
	ds_load_b128 v[0:3], v8 offset:46000
	s_waitcnt vmcnt(0) lgkmcnt(0)
	v_mul_f64 v[36:37], v[40:41], v[2:3]
	s_delay_alu instid0(VALU_DEP_1) | instskip(SKIP_1) | instid1(VALU_DEP_1)
	v_fma_f64 v[36:37], v[38:39], v[0:1], v[36:37]
	v_mul_f64 v[0:1], v[40:41], v[0:1]
	v_fma_f64 v[186:187], v[38:39], v[2:3], -v[0:1]
	ds_load_b128 v[0:3], v8 offset:18000
	s_waitcnt lgkmcnt(0)
	v_mul_f64 v[38:39], v[50:51], v[2:3]
	s_delay_alu instid0(VALU_DEP_1)
	v_fma_f64 v[60:61], v[48:49], v[0:1], v[38:39]
	v_mul_f64 v[0:1], v[50:51], v[0:1]
	scratch_load_b128 v[50:53], off, off offset:684 ; 16-byte Folded Reload
	v_fma_f64 v[62:63], v[48:49], v[2:3], -v[0:1]
	ds_load_b128 v[0:3], v8 offset:28000
	s_waitcnt vmcnt(0) lgkmcnt(0)
	v_mul_f64 v[38:39], v[52:53], v[2:3]
	s_delay_alu instid0(VALU_DEP_1) | instskip(SKIP_1) | instid1(VALU_DEP_1)
	v_fma_f64 v[48:49], v[50:51], v[0:1], v[38:39]
	v_mul_f64 v[0:1], v[52:53], v[0:1]
	v_fma_f64 v[50:51], v[50:51], v[2:3], -v[0:1]
	ds_load_b128 v[0:3], v8 offset:38000
	s_waitcnt lgkmcnt(0)
	v_mul_f64 v[38:39], v[66:67], v[2:3]
	s_delay_alu instid0(VALU_DEP_1) | instskip(SKIP_1) | instid1(VALU_DEP_1)
	v_fma_f64 v[40:41], v[64:65], v[0:1], v[38:39]
	v_mul_f64 v[0:1], v[66:67], v[0:1]
	v_fma_f64 v[52:53], v[64:65], v[2:3], -v[0:1]
	scratch_load_b128 v[64:67], off, off offset:716 ; 16-byte Folded Reload
	ds_load_b128 v[0:3], v8 offset:48000
	s_waitcnt vmcnt(0) lgkmcnt(0)
	v_mul_f64 v[38:39], v[66:67], v[2:3]
	s_delay_alu instid0(VALU_DEP_1) | instskip(SKIP_1) | instid1(VALU_DEP_1)
	v_fma_f64 v[38:39], v[64:65], v[0:1], v[38:39]
	v_mul_f64 v[0:1], v[66:67], v[0:1]
	v_fma_f64 v[180:181], v[64:65], v[2:3], -v[0:1]
	v_add_f64 v[0:1], v[72:73], -v[4:5]
	v_add_f64 v[2:3], v[76:77], -v[84:85]
	v_add_f64 v[64:65], v[4:5], v[84:85]
	s_delay_alu instid0(VALU_DEP_2) | instskip(SKIP_2) | instid1(VALU_DEP_1)
	v_add_f64 v[68:69], v[0:1], v[2:3]
	v_add_f64 v[0:1], v[74:75], -v[6:7]
	v_add_f64 v[2:3], v[82:83], -v[86:87]
	v_add_f64 v[70:71], v[0:1], v[2:3]
	ds_load_b128 v[0:3], v8
	s_waitcnt lgkmcnt(0)
	v_fma_f64 v[88:89], v[64:65], -0.5, v[0:1]
	v_add_f64 v[64:65], v[6:7], v[86:87]
	s_delay_alu instid0(VALU_DEP_1) | instskip(NEXT) | instid1(VALU_DEP_3)
	v_fma_f64 v[90:91], v[64:65], -0.5, v[2:3]
	v_fma_f64 v[64:65], v[92:93], s[14:15], v[88:89]
	v_fma_f64 v[88:89], v[92:93], s[16:17], v[88:89]
	s_delay_alu instid0(VALU_DEP_3) | instskip(SKIP_1) | instid1(VALU_DEP_4)
	v_fma_f64 v[66:67], v[96:97], s[16:17], v[90:91]
	v_fma_f64 v[90:91], v[96:97], s[14:15], v[90:91]
	;; [unrolled: 1-line block ×3, first 2 shown]
	s_delay_alu instid0(VALU_DEP_4) | instskip(NEXT) | instid1(VALU_DEP_4)
	v_fma_f64 v[88:89], v[94:95], s[2:3], v[88:89]
	v_fma_f64 v[66:67], v[98:99], s[2:3], v[66:67]
	s_delay_alu instid0(VALU_DEP_4) | instskip(NEXT) | instid1(VALU_DEP_4)
	v_fma_f64 v[90:91], v[98:99], s[8:9], v[90:91]
	v_fma_f64 v[64:65], v[68:69], s[12:13], v[64:65]
	s_delay_alu instid0(VALU_DEP_4) | instskip(SKIP_4) | instid1(VALU_DEP_4)
	v_fma_f64 v[68:69], v[68:69], s[12:13], v[88:89]
	v_add_f64 v[88:89], v[72:73], v[76:77]
	v_fma_f64 v[66:67], v[70:71], s[12:13], v[66:67]
	v_fma_f64 v[70:71], v[70:71], s[12:13], v[90:91]
	v_add_f64 v[90:91], v[74:75], v[82:83]
	v_fma_f64 v[88:89], v[88:89], -0.5, v[0:1]
	v_add_f64 v[0:1], v[0:1], v[4:5]
	v_add_f64 v[4:5], v[4:5], -v[72:73]
	s_delay_alu instid0(VALU_DEP_4) | instskip(SKIP_3) | instid1(VALU_DEP_3)
	v_fma_f64 v[90:91], v[90:91], -0.5, v[2:3]
	v_add_f64 v[2:3], v[2:3], v[6:7]
	v_add_f64 v[6:7], v[6:7], -v[74:75]
	v_add_f64 v[0:1], v[0:1], v[72:73]
	v_add_f64 v[2:3], v[2:3], v[74:75]
	s_delay_alu instid0(VALU_DEP_2) | instskip(SKIP_1) | instid1(VALU_DEP_3)
	v_add_f64 v[0:1], v[0:1], v[76:77]
	v_add_f64 v[76:77], v[84:85], -v[76:77]
	v_add_f64 v[2:3], v[2:3], v[82:83]
	s_delay_alu instid0(VALU_DEP_3)
	v_add_f64 v[72:73], v[0:1], v[84:85]
	v_add_f64 v[0:1], v[86:87], -v[82:83]
	v_fma_f64 v[84:85], v[98:99], s[14:15], v[90:91]
	v_fma_f64 v[82:83], v[94:95], s[14:15], v[88:89]
	v_add_f64 v[4:5], v[4:5], v[76:77]
	v_add_f64 v[74:75], v[2:3], v[86:87]
	v_fma_f64 v[2:3], v[94:95], s[16:17], v[88:89]
	v_fma_f64 v[86:87], v[98:99], s[16:17], v[90:91]
	v_add_f64 v[0:1], v[6:7], v[0:1]
	v_fma_f64 v[76:77], v[96:97], s[2:3], v[84:85]
	v_fma_f64 v[6:7], v[92:93], s[2:3], v[82:83]
	;; [unrolled: 1-line block ×4, first 2 shown]
	s_delay_alu instid0(VALU_DEP_4) | instskip(NEXT) | instid1(VALU_DEP_4)
	v_fma_f64 v[84:85], v[0:1], s[12:13], v[76:77]
	v_fma_f64 v[86:87], v[4:5], s[12:13], v[6:7]
	v_add_f64 v[76:77], v[11:12], -v[13:14]
	v_fma_f64 v[82:83], v[4:5], s[12:13], v[2:3]
	v_fma_f64 v[88:89], v[0:1], s[12:13], v[88:89]
	ds_load_b128 v[0:3], v8 offset:8000
	ds_load_b128 v[90:93], v8 offset:2000
	;; [unrolled: 1-line block ×4, first 2 shown]
	s_waitcnt lgkmcnt(0)
	s_barrier
	buffer_gl0_inv
	ds_store_b128 v218, v[72:75]
	ds_store_b128 v218, v[82:85] offset:80
	ds_store_b128 v218, v[64:67] offset:160
	ds_store_b128 v218, v[68:71] offset:240
	ds_store_b128 v218, v[86:89] offset:320
	v_add_f64 v[64:65], v[56:57], -v[58:59]
	v_add_f64 v[66:67], v[54:55], -v[9:10]
	;; [unrolled: 1-line block ×3, first 2 shown]
	scratch_load_b32 v218, off, off offset:872 ; 4-byte Folded Reload
	v_add_f64 v[84:85], v[56:57], -v[54:55]
	v_add_f64 v[86:87], v[58:59], -v[9:10]
	v_add_f64 v[88:89], v[90:91], v[58:59]
	v_add_f64 v[68:69], v[64:65], v[66:67]
	v_add_f64 v[64:65], v[11:12], -v[15:16]
	v_add_f64 v[66:67], v[13:14], -v[78:79]
	s_delay_alu instid0(VALU_DEP_1) | instskip(SKIP_2) | instid1(VALU_DEP_2)
	v_add_f64 v[70:71], v[64:65], v[66:67]
	v_add_f64 v[64:65], v[58:59], v[9:10]
	v_add_f64 v[58:59], v[58:59], -v[56:57]
	v_fma_f64 v[72:73], v[64:65], -0.5, v[90:91]
	v_add_f64 v[64:65], v[15:16], v[78:79]
	s_delay_alu instid0(VALU_DEP_1) | instskip(NEXT) | instid1(VALU_DEP_3)
	v_fma_f64 v[74:75], v[64:65], -0.5, v[92:93]
	v_fma_f64 v[64:65], v[76:77], s[14:15], v[72:73]
	v_fma_f64 v[72:73], v[76:77], s[16:17], v[72:73]
	s_delay_alu instid0(VALU_DEP_3) | instskip(NEXT) | instid1(VALU_DEP_3)
	v_fma_f64 v[66:67], v[84:85], s[16:17], v[74:75]
	v_fma_f64 v[64:65], v[82:83], s[8:9], v[64:65]
	s_delay_alu instid0(VALU_DEP_3) | instskip(SKIP_1) | instid1(VALU_DEP_4)
	v_fma_f64 v[72:73], v[82:83], s[2:3], v[72:73]
	v_fma_f64 v[74:75], v[84:85], s[14:15], v[74:75]
	;; [unrolled: 1-line block ×3, first 2 shown]
	s_delay_alu instid0(VALU_DEP_4) | instskip(NEXT) | instid1(VALU_DEP_4)
	v_fma_f64 v[64:65], v[68:69], s[12:13], v[64:65]
	v_fma_f64 v[68:69], v[68:69], s[12:13], v[72:73]
	v_add_f64 v[72:73], v[56:57], v[54:55]
	v_fma_f64 v[74:75], v[86:87], s[8:9], v[74:75]
	v_add_f64 v[56:57], v[88:89], v[56:57]
	v_fma_f64 v[66:67], v[70:71], s[12:13], v[66:67]
	s_delay_alu instid0(VALU_DEP_4) | instskip(SKIP_4) | instid1(VALU_DEP_4)
	v_fma_f64 v[72:73], v[72:73], -0.5, v[90:91]
	v_add_f64 v[90:91], v[92:93], v[15:16]
	v_fma_f64 v[70:71], v[70:71], s[12:13], v[74:75]
	v_add_f64 v[74:75], v[11:12], v[13:14]
	v_add_f64 v[15:16], v[15:16], -v[11:12]
	v_add_f64 v[88:89], v[90:91], v[11:12]
	v_add_f64 v[11:12], v[56:57], v[54:55]
	s_delay_alu instid0(VALU_DEP_4) | instskip(SKIP_1) | instid1(VALU_DEP_4)
	v_fma_f64 v[74:75], v[74:75], -0.5, v[92:93]
	v_add_f64 v[54:55], v[9:10], -v[54:55]
	v_add_f64 v[56:57], v[88:89], v[13:14]
	s_delay_alu instid0(VALU_DEP_4) | instskip(SKIP_1) | instid1(VALU_DEP_4)
	v_add_f64 v[9:10], v[11:12], v[9:10]
	v_add_f64 v[13:14], v[78:79], -v[13:14]
	v_add_f64 v[54:55], v[58:59], v[54:55]
	s_delay_alu instid0(VALU_DEP_4)
	v_add_f64 v[11:12], v[56:57], v[78:79]
	v_fma_f64 v[56:57], v[82:83], s[16:17], v[72:73]
	v_fma_f64 v[78:79], v[86:87], s[14:15], v[74:75]
	;; [unrolled: 1-line block ×4, first 2 shown]
	v_add_f64 v[58:59], v[15:16], v[13:14]
	v_fma_f64 v[13:14], v[76:77], s[8:9], v[56:57]
	v_fma_f64 v[15:16], v[84:85], s[2:3], v[78:79]
	;; [unrolled: 1-line block ×4, first 2 shown]
	s_delay_alu instid0(VALU_DEP_4) | instskip(NEXT) | instid1(VALU_DEP_4)
	v_fma_f64 v[13:14], v[54:55], s[12:13], v[13:14]
	v_fma_f64 v[15:16], v[58:59], s[12:13], v[15:16]
	s_delay_alu instid0(VALU_DEP_4) | instskip(NEXT) | instid1(VALU_DEP_4)
	v_fma_f64 v[54:55], v[54:55], s[12:13], v[56:57]
	v_fma_f64 v[56:57], v[58:59], s[12:13], v[72:73]
	s_waitcnt vmcnt(0)
	ds_store_b128 v218, v[9:12]
	ds_store_b128 v218, v[13:16] offset:80
	ds_store_b128 v218, v[64:67] offset:160
	;; [unrolled: 1-line block ×4, first 2 shown]
	v_add_f64 v[9:10], v[20:21], -v[34:35]
	v_add_f64 v[11:12], v[44:45], -v[17:18]
	scratch_load_b32 v218, off, off offset:1516 ; 4-byte Folded Reload
	v_add_f64 v[58:59], v[32:33], -v[22:23]
	v_add_f64 v[66:67], v[20:21], -v[44:45]
	;; [unrolled: 1-line block ×4, first 2 shown]
	v_add_f64 v[70:71], v[94:95], v[34:35]
	v_add_f64 v[72:73], v[96:97], v[24:25]
	v_add_f64 v[13:14], v[9:10], v[11:12]
	v_add_f64 v[9:10], v[32:33], -v[24:25]
	v_add_f64 v[11:12], v[22:23], -v[42:43]
	s_delay_alu instid0(VALU_DEP_1) | instskip(SKIP_2) | instid1(VALU_DEP_2)
	v_add_f64 v[15:16], v[9:10], v[11:12]
	v_add_f64 v[9:10], v[34:35], v[17:18]
	v_add_f64 v[34:35], v[34:35], -v[20:21]
	v_fma_f64 v[54:55], v[9:10], -0.5, v[94:95]
	v_add_f64 v[9:10], v[24:25], v[42:43]
	v_add_f64 v[24:25], v[24:25], -v[32:33]
	s_delay_alu instid0(VALU_DEP_2) | instskip(NEXT) | instid1(VALU_DEP_4)
	v_fma_f64 v[56:57], v[9:10], -0.5, v[96:97]
	v_fma_f64 v[9:10], v[58:59], s[14:15], v[54:55]
	v_fma_f64 v[54:55], v[58:59], s[16:17], v[54:55]
	s_delay_alu instid0(VALU_DEP_3) | instskip(SKIP_1) | instid1(VALU_DEP_4)
	v_fma_f64 v[11:12], v[66:67], s[16:17], v[56:57]
	v_fma_f64 v[56:57], v[66:67], s[14:15], v[56:57]
	;; [unrolled: 1-line block ×3, first 2 shown]
	s_delay_alu instid0(VALU_DEP_4) | instskip(NEXT) | instid1(VALU_DEP_4)
	v_fma_f64 v[54:55], v[64:65], s[2:3], v[54:55]
	v_fma_f64 v[11:12], v[68:69], s[2:3], v[11:12]
	s_delay_alu instid0(VALU_DEP_4) | instskip(NEXT) | instid1(VALU_DEP_4)
	v_fma_f64 v[56:57], v[68:69], s[8:9], v[56:57]
	v_fma_f64 v[9:10], v[13:14], s[12:13], v[9:10]
	s_delay_alu instid0(VALU_DEP_4)
	v_fma_f64 v[13:14], v[13:14], s[12:13], v[54:55]
	v_add_f64 v[54:55], v[20:21], v[44:45]
	v_add_f64 v[19:20], v[70:71], v[20:21]
	;; [unrolled: 1-line block ×3, first 2 shown]
	v_fma_f64 v[11:12], v[15:16], s[12:13], v[11:12]
	v_fma_f64 v[15:16], v[15:16], s[12:13], v[56:57]
	v_add_f64 v[56:57], v[32:33], v[22:23]
	v_fma_f64 v[54:55], v[54:55], -0.5, v[94:95]
	v_add_f64 v[19:20], v[19:20], v[44:45]
	v_add_f64 v[32:33], v[70:71], v[22:23]
	v_add_f64 v[44:45], v[17:18], -v[44:45]
	v_add_f64 v[21:22], v[42:43], -v[22:23]
	v_fma_f64 v[56:57], v[56:57], -0.5, v[96:97]
	v_add_f64 v[17:18], v[19:20], v[17:18]
	v_add_f64 v[19:20], v[32:33], v[42:43]
	v_fma_f64 v[32:33], v[64:65], s[16:17], v[54:55]
	v_fma_f64 v[42:43], v[64:65], s[14:15], v[54:55]
	v_add_f64 v[34:35], v[34:35], v[44:45]
	v_add_f64 v[44:45], v[24:25], v[21:22]
	v_fma_f64 v[54:55], v[68:69], s[14:15], v[56:57]
	v_fma_f64 v[56:57], v[68:69], s[16:17], v[56:57]
	;; [unrolled: 1-line block ×4, first 2 shown]
	s_delay_alu instid0(VALU_DEP_4) | instskip(NEXT) | instid1(VALU_DEP_4)
	v_fma_f64 v[23:24], v[66:67], s[2:3], v[54:55]
	v_fma_f64 v[42:43], v[66:67], s[8:9], v[56:57]
	s_delay_alu instid0(VALU_DEP_4) | instskip(NEXT) | instid1(VALU_DEP_4)
	v_fma_f64 v[21:22], v[34:35], s[12:13], v[21:22]
	v_fma_f64 v[32:33], v[34:35], s[12:13], v[32:33]
	;; [unrolled: 3-line block ×3, first 2 shown]
	s_waitcnt vmcnt(0)
	ds_store_b128 v218, v[17:20]
	ds_store_b128 v218, v[21:24] offset:80
	ds_store_b128 v218, v[9:12] offset:160
	;; [unrolled: 1-line block ×4, first 2 shown]
	v_add_f64 v[9:10], v[130:131], -v[46:47]
	v_add_f64 v[11:12], v[28:29], -v[36:37]
	;; [unrolled: 1-line block ×7, first 2 shown]
	v_add_f64 v[13:14], v[9:10], v[11:12]
	v_add_f64 v[9:10], v[26:27], -v[30:31]
	v_add_f64 v[11:12], v[80:81], -v[186:187]
	s_delay_alu instid0(VALU_DEP_1) | instskip(SKIP_1) | instid1(VALU_DEP_1)
	v_add_f64 v[15:16], v[9:10], v[11:12]
	v_add_f64 v[9:10], v[46:47], v[36:37]
	v_fma_f64 v[17:18], v[9:10], -0.5, v[4:5]
	v_add_f64 v[9:10], v[30:31], v[186:187]
	s_delay_alu instid0(VALU_DEP_1) | instskip(NEXT) | instid1(VALU_DEP_3)
	v_fma_f64 v[19:20], v[9:10], -0.5, v[6:7]
	v_fma_f64 v[9:10], v[21:22], s[14:15], v[17:18]
	v_fma_f64 v[17:18], v[21:22], s[16:17], v[17:18]
	s_delay_alu instid0(VALU_DEP_3) | instskip(NEXT) | instid1(VALU_DEP_3)
	v_fma_f64 v[11:12], v[32:33], s[16:17], v[19:20]
	v_fma_f64 v[9:10], v[23:24], s[8:9], v[9:10]
	s_delay_alu instid0(VALU_DEP_3) | instskip(SKIP_1) | instid1(VALU_DEP_4)
	v_fma_f64 v[17:18], v[23:24], s[2:3], v[17:18]
	v_fma_f64 v[19:20], v[32:33], s[14:15], v[19:20]
	;; [unrolled: 1-line block ×3, first 2 shown]
	s_delay_alu instid0(VALU_DEP_4) | instskip(NEXT) | instid1(VALU_DEP_4)
	v_fma_f64 v[9:10], v[13:14], s[12:13], v[9:10]
	v_fma_f64 v[13:14], v[13:14], s[12:13], v[17:18]
	v_add_f64 v[17:18], v[130:131], v[28:29]
	v_fma_f64 v[19:20], v[34:35], s[8:9], v[19:20]
	v_fma_f64 v[11:12], v[15:16], s[12:13], v[11:12]
	s_delay_alu instid0(VALU_DEP_3) | instskip(SKIP_1) | instid1(VALU_DEP_4)
	v_fma_f64 v[17:18], v[17:18], -0.5, v[4:5]
	v_add_f64 v[4:5], v[4:5], v[46:47]
	v_fma_f64 v[15:16], v[15:16], s[12:13], v[19:20]
	v_add_f64 v[19:20], v[26:27], v[80:81]
	s_delay_alu instid0(VALU_DEP_3) | instskip(NEXT) | instid1(VALU_DEP_2)
	v_add_f64 v[4:5], v[4:5], v[130:131]
	v_fma_f64 v[19:20], v[19:20], -0.5, v[6:7]
	v_add_f64 v[6:7], v[6:7], v[30:31]
	s_delay_alu instid0(VALU_DEP_3) | instskip(NEXT) | instid1(VALU_DEP_2)
	v_add_f64 v[4:5], v[4:5], v[28:29]
	v_add_f64 v[6:7], v[6:7], v[26:27]
	v_add_f64 v[25:26], v[30:31], -v[26:27]
	v_add_f64 v[27:28], v[36:37], -v[28:29]
	;; [unrolled: 1-line block ×3, first 2 shown]
	v_add_f64 v[4:5], v[4:5], v[36:37]
	v_fma_f64 v[36:37], v[23:24], s[16:17], v[17:18]
	v_fma_f64 v[17:18], v[23:24], s[14:15], v[17:18]
	v_fma_f64 v[23:24], v[34:35], s[14:15], v[19:20]
	v_fma_f64 v[19:20], v[34:35], s[16:17], v[19:20]
	v_add_f64 v[6:7], v[6:7], v[80:81]
	v_add_f64 v[25:26], v[25:26], v[29:30]
	;; [unrolled: 1-line block ×3, first 2 shown]
	v_fma_f64 v[29:30], v[21:22], s[8:9], v[36:37]
	v_fma_f64 v[21:22], v[21:22], s[2:3], v[17:18]
	;; [unrolled: 1-line block ×4, first 2 shown]
	v_add_f64 v[6:7], v[6:7], v[186:187]
	v_fma_f64 v[17:18], v[27:28], s[12:13], v[29:30]
	v_fma_f64 v[21:22], v[27:28], s[12:13], v[21:22]
	;; [unrolled: 1-line block ×4, first 2 shown]
	scratch_load_b32 v25, off, off offset:1404 ; 4-byte Folded Reload
	s_waitcnt vmcnt(0)
	ds_store_b128 v25, v[4:7]
	ds_store_b128 v25, v[17:20] offset:80
	ds_store_b128 v25, v[9:12] offset:160
	;; [unrolled: 1-line block ×4, first 2 shown]
	v_add_f64 v[4:5], v[48:49], -v[60:61]
	v_add_f64 v[6:7], v[40:41], -v[38:39]
	;; [unrolled: 1-line block ×10, first 2 shown]
	v_add_f64 v[9:10], v[4:5], v[6:7]
	v_add_f64 v[4:5], v[50:51], -v[62:63]
	v_add_f64 v[6:7], v[52:53], -v[180:181]
	s_delay_alu instid0(VALU_DEP_1) | instskip(SKIP_1) | instid1(VALU_DEP_1)
	v_add_f64 v[11:12], v[4:5], v[6:7]
	v_add_f64 v[4:5], v[60:61], v[38:39]
	v_fma_f64 v[13:14], v[4:5], -0.5, v[0:1]
	v_add_f64 v[4:5], v[62:63], v[180:181]
	s_delay_alu instid0(VALU_DEP_1) | instskip(NEXT) | instid1(VALU_DEP_3)
	v_fma_f64 v[15:16], v[4:5], -0.5, v[2:3]
	v_fma_f64 v[4:5], v[17:18], s[14:15], v[13:14]
	v_fma_f64 v[13:14], v[17:18], s[16:17], v[13:14]
	s_delay_alu instid0(VALU_DEP_3) | instskip(SKIP_1) | instid1(VALU_DEP_4)
	v_fma_f64 v[6:7], v[21:22], s[16:17], v[15:16]
	v_fma_f64 v[15:16], v[21:22], s[14:15], v[15:16]
	;; [unrolled: 1-line block ×3, first 2 shown]
	s_delay_alu instid0(VALU_DEP_4) | instskip(NEXT) | instid1(VALU_DEP_4)
	v_fma_f64 v[13:14], v[19:20], s[2:3], v[13:14]
	v_fma_f64 v[6:7], v[23:24], s[2:3], v[6:7]
	s_delay_alu instid0(VALU_DEP_4) | instskip(NEXT) | instid1(VALU_DEP_4)
	v_fma_f64 v[15:16], v[23:24], s[8:9], v[15:16]
	v_fma_f64 v[4:5], v[9:10], s[12:13], v[4:5]
	s_delay_alu instid0(VALU_DEP_4) | instskip(SKIP_4) | instid1(VALU_DEP_4)
	v_fma_f64 v[9:10], v[9:10], s[12:13], v[13:14]
	v_add_f64 v[13:14], v[48:49], v[40:41]
	v_fma_f64 v[6:7], v[11:12], s[12:13], v[6:7]
	v_fma_f64 v[11:12], v[11:12], s[12:13], v[15:16]
	v_add_f64 v[15:16], v[50:51], v[52:53]
	v_fma_f64 v[13:14], v[13:14], -0.5, v[0:1]
	v_add_f64 v[0:1], v[0:1], v[60:61]
	s_delay_alu instid0(VALU_DEP_3) | instskip(SKIP_1) | instid1(VALU_DEP_4)
	v_fma_f64 v[15:16], v[15:16], -0.5, v[2:3]
	v_add_f64 v[2:3], v[2:3], v[62:63]
	v_fma_f64 v[33:34], v[19:20], s[16:17], v[13:14]
	v_fma_f64 v[13:14], v[19:20], s[14:15], v[13:14]
	v_add_f64 v[0:1], v[0:1], v[48:49]
	v_fma_f64 v[19:20], v[23:24], s[14:15], v[15:16]
	v_fma_f64 v[15:16], v[23:24], s[16:17], v[15:16]
	v_add_f64 v[23:24], v[25:26], v[29:30]
	v_add_f64 v[25:26], v[27:28], v[31:32]
	;; [unrolled: 1-line block ×4, first 2 shown]
	v_fma_f64 v[27:28], v[17:18], s[8:9], v[33:34]
	v_fma_f64 v[17:18], v[17:18], s[2:3], v[13:14]
	;; [unrolled: 1-line block ×4, first 2 shown]
	v_add_f64 v[2:3], v[2:3], v[52:53]
	v_add_f64 v[0:1], v[0:1], v[38:39]
	v_fma_f64 v[13:14], v[23:24], s[12:13], v[27:28]
	v_fma_f64 v[17:18], v[23:24], s[12:13], v[17:18]
	;; [unrolled: 1-line block ×4, first 2 shown]
	scratch_load_b32 v21, off, off offset:1028 ; 4-byte Folded Reload
	v_add_f64 v[2:3], v[2:3], v[180:181]
	s_waitcnt vmcnt(0)
	ds_store_b128 v21, v[0:3]
	ds_store_b128 v21, v[13:16] offset:80
	ds_store_b128 v21, v[4:7] offset:160
	;; [unrolled: 1-line block ×4, first 2 shown]
	s_waitcnt lgkmcnt(0)
	s_barrier
	buffer_gl0_inv
	s_clause 0x1
	scratch_load_b128 v[9:12], off, off offset:736
	scratch_load_b128 v[16:19], off, off offset:1144
	ds_load_b128 v[0:3], v8 offset:10000
	s_clause 0x1
	scratch_load_b128 v[20:23], off, off offset:1160
	scratch_load_b128 v[62:65], off, off offset:1176
	s_waitcnt vmcnt(3) lgkmcnt(0)
	v_mul_f64 v[4:5], v[11:12], v[2:3]
	s_delay_alu instid0(VALU_DEP_1)
	v_fma_f64 v[4:5], v[9:10], v[0:1], v[4:5]
	v_mul_f64 v[0:1], v[11:12], v[0:1]
	scratch_load_b128 v[11:14], off, off offset:752 ; 16-byte Folded Reload
	v_fma_f64 v[6:7], v[9:10], v[2:3], -v[0:1]
	ds_load_b128 v[0:3], v8 offset:20000
	s_waitcnt vmcnt(0) lgkmcnt(0)
	v_mul_f64 v[9:10], v[13:14], v[2:3]
	s_delay_alu instid0(VALU_DEP_1) | instskip(SKIP_1) | instid1(VALU_DEP_1)
	v_fma_f64 v[70:71], v[11:12], v[0:1], v[9:10]
	v_mul_f64 v[0:1], v[13:14], v[0:1]
	v_fma_f64 v[72:73], v[11:12], v[2:3], -v[0:1]
	scratch_load_b128 v[11:14], off, off offset:768 ; 16-byte Folded Reload
	ds_load_b128 v[0:3], v8 offset:30000
	s_waitcnt vmcnt(0) lgkmcnt(0)
	v_mul_f64 v[9:10], v[13:14], v[2:3]
	s_delay_alu instid0(VALU_DEP_1) | instskip(SKIP_1) | instid1(VALU_DEP_2)
	v_fma_f64 v[74:75], v[11:12], v[0:1], v[9:10]
	v_mul_f64 v[0:1], v[13:14], v[0:1]
	v_add_f64 v[94:95], v[70:71], -v[74:75]
	s_delay_alu instid0(VALU_DEP_2)
	v_fma_f64 v[76:77], v[11:12], v[2:3], -v[0:1]
	scratch_load_b128 v[11:14], off, off offset:784 ; 16-byte Folded Reload
	ds_load_b128 v[0:3], v8 offset:40000
	v_add_f64 v[90:91], v[72:73], -v[76:77]
	s_waitcnt vmcnt(0) lgkmcnt(0)
	v_mul_f64 v[9:10], v[13:14], v[2:3]
	s_delay_alu instid0(VALU_DEP_1) | instskip(SKIP_1) | instid1(VALU_DEP_2)
	v_fma_f64 v[82:83], v[11:12], v[0:1], v[9:10]
	v_mul_f64 v[0:1], v[13:14], v[0:1]
	v_add_f64 v[96:97], v[4:5], -v[82:83]
	s_delay_alu instid0(VALU_DEP_2)
	v_fma_f64 v[84:85], v[11:12], v[2:3], -v[0:1]
	scratch_load_b128 v[11:14], off, off offset:804 ; 16-byte Folded Reload
	ds_load_b128 v[0:3], v8 offset:12000
	v_add_f64 v[92:93], v[6:7], -v[84:85]
	s_waitcnt vmcnt(0) lgkmcnt(0)
	v_mul_f64 v[9:10], v[13:14], v[2:3]
	s_delay_alu instid0(VALU_DEP_1) | instskip(SKIP_1) | instid1(VALU_DEP_1)
	v_fma_f64 v[58:59], v[11:12], v[0:1], v[9:10]
	v_mul_f64 v[0:1], v[13:14], v[0:1]
	v_fma_f64 v[48:49], v[11:12], v[2:3], -v[0:1]
	scratch_load_b128 v[11:14], off, off offset:820 ; 16-byte Folded Reload
	ds_load_b128 v[0:3], v8 offset:22000
	s_waitcnt vmcnt(0) lgkmcnt(0)
	v_mul_f64 v[9:10], v[13:14], v[2:3]
	s_delay_alu instid0(VALU_DEP_1) | instskip(SKIP_1) | instid1(VALU_DEP_1)
	v_fma_f64 v[52:53], v[11:12], v[0:1], v[9:10]
	v_mul_f64 v[0:1], v[13:14], v[0:1]
	v_fma_f64 v[54:55], v[11:12], v[2:3], -v[0:1]
	scratch_load_b128 v[11:14], off, off offset:836 ; 16-byte Folded Reload
	ds_load_b128 v[0:3], v8 offset:32000
	;; [unrolled: 8-line block ×12, first 2 shown]
	s_waitcnt vmcnt(0) lgkmcnt(0)
	v_mul_f64 v[9:10], v[14:15], v[2:3]
	s_delay_alu instid0(VALU_DEP_1) | instskip(SKIP_1) | instid1(VALU_DEP_1)
	v_fma_f64 v[10:11], v[12:13], v[0:1], v[9:10]
	v_mul_f64 v[0:1], v[14:15], v[0:1]
	v_fma_f64 v[204:205], v[12:13], v[2:3], -v[0:1]
	ds_load_b128 v[0:3], v8 offset:28000
	s_waitcnt lgkmcnt(0)
	v_mul_f64 v[12:13], v[18:19], v[2:3]
	s_delay_alu instid0(VALU_DEP_1) | instskip(SKIP_1) | instid1(VALU_DEP_1)
	v_fma_f64 v[14:15], v[16:17], v[0:1], v[12:13]
	v_mul_f64 v[0:1], v[18:19], v[0:1]
	v_fma_f64 v[16:17], v[16:17], v[2:3], -v[0:1]
	ds_load_b128 v[0:3], v8 offset:38000
	s_waitcnt lgkmcnt(0)
	;; [unrolled: 7-line block ×3, first 2 shown]
	v_mul_f64 v[20:21], v[64:65], v[2:3]
	s_delay_alu instid0(VALU_DEP_1) | instskip(SKIP_1) | instid1(VALU_DEP_1)
	v_fma_f64 v[20:21], v[62:63], v[0:1], v[20:21]
	v_mul_f64 v[0:1], v[64:65], v[0:1]
	v_fma_f64 v[22:23], v[62:63], v[2:3], -v[0:1]
	v_add_f64 v[0:1], v[70:71], -v[4:5]
	v_add_f64 v[2:3], v[74:75], -v[82:83]
	v_add_f64 v[62:63], v[4:5], v[82:83]
	s_delay_alu instid0(VALU_DEP_2) | instskip(SKIP_2) | instid1(VALU_DEP_1)
	v_add_f64 v[66:67], v[0:1], v[2:3]
	v_add_f64 v[0:1], v[72:73], -v[6:7]
	v_add_f64 v[2:3], v[76:77], -v[84:85]
	v_add_f64 v[68:69], v[0:1], v[2:3]
	ds_load_b128 v[0:3], v8
	s_waitcnt lgkmcnt(0)
	v_fma_f64 v[86:87], v[62:63], -0.5, v[0:1]
	v_add_f64 v[62:63], v[6:7], v[84:85]
	s_delay_alu instid0(VALU_DEP_1) | instskip(NEXT) | instid1(VALU_DEP_3)
	v_fma_f64 v[88:89], v[62:63], -0.5, v[2:3]
	v_fma_f64 v[62:63], v[90:91], s[14:15], v[86:87]
	v_fma_f64 v[86:87], v[90:91], s[16:17], v[86:87]
	s_delay_alu instid0(VALU_DEP_3) | instskip(SKIP_1) | instid1(VALU_DEP_4)
	v_fma_f64 v[64:65], v[94:95], s[16:17], v[88:89]
	v_fma_f64 v[88:89], v[94:95], s[14:15], v[88:89]
	;; [unrolled: 1-line block ×3, first 2 shown]
	s_delay_alu instid0(VALU_DEP_4) | instskip(NEXT) | instid1(VALU_DEP_4)
	v_fma_f64 v[86:87], v[92:93], s[2:3], v[86:87]
	v_fma_f64 v[64:65], v[96:97], s[2:3], v[64:65]
	s_delay_alu instid0(VALU_DEP_4) | instskip(NEXT) | instid1(VALU_DEP_4)
	v_fma_f64 v[88:89], v[96:97], s[8:9], v[88:89]
	v_fma_f64 v[62:63], v[66:67], s[12:13], v[62:63]
	s_delay_alu instid0(VALU_DEP_4) | instskip(SKIP_4) | instid1(VALU_DEP_4)
	v_fma_f64 v[66:67], v[66:67], s[12:13], v[86:87]
	v_add_f64 v[86:87], v[70:71], v[74:75]
	v_fma_f64 v[64:65], v[68:69], s[12:13], v[64:65]
	v_fma_f64 v[68:69], v[68:69], s[12:13], v[88:89]
	v_add_f64 v[88:89], v[72:73], v[76:77]
	v_fma_f64 v[86:87], v[86:87], -0.5, v[0:1]
	v_add_f64 v[0:1], v[0:1], v[4:5]
	v_add_f64 v[4:5], v[4:5], -v[70:71]
	s_delay_alu instid0(VALU_DEP_4) | instskip(SKIP_3) | instid1(VALU_DEP_3)
	v_fma_f64 v[88:89], v[88:89], -0.5, v[2:3]
	v_add_f64 v[2:3], v[2:3], v[6:7]
	v_add_f64 v[6:7], v[6:7], -v[72:73]
	v_add_f64 v[0:1], v[0:1], v[70:71]
	v_add_f64 v[2:3], v[2:3], v[72:73]
	s_delay_alu instid0(VALU_DEP_2) | instskip(SKIP_1) | instid1(VALU_DEP_3)
	v_add_f64 v[0:1], v[0:1], v[74:75]
	v_add_f64 v[74:75], v[82:83], -v[74:75]
	v_add_f64 v[2:3], v[2:3], v[76:77]
	s_delay_alu instid0(VALU_DEP_3)
	v_add_f64 v[70:71], v[0:1], v[82:83]
	v_add_f64 v[0:1], v[84:85], -v[76:77]
	v_fma_f64 v[76:77], v[92:93], s[14:15], v[86:87]
	v_fma_f64 v[82:83], v[96:97], s[14:15], v[88:89]
	v_add_f64 v[4:5], v[4:5], v[74:75]
	v_add_f64 v[72:73], v[2:3], v[84:85]
	v_fma_f64 v[2:3], v[92:93], s[16:17], v[86:87]
	v_fma_f64 v[84:85], v[96:97], s[16:17], v[88:89]
	v_add_f64 v[0:1], v[6:7], v[0:1]
	v_fma_f64 v[6:7], v[90:91], s[2:3], v[76:77]
	v_fma_f64 v[76:77], v[94:95], s[2:3], v[82:83]
	;; [unrolled: 1-line block ×4, first 2 shown]
	s_delay_alu instid0(VALU_DEP_4) | instskip(NEXT) | instid1(VALU_DEP_4)
	v_fma_f64 v[82:83], v[4:5], s[12:13], v[6:7]
	v_fma_f64 v[76:77], v[0:1], s[12:13], v[76:77]
	s_delay_alu instid0(VALU_DEP_4) | instskip(NEXT) | instid1(VALU_DEP_4)
	v_fma_f64 v[74:75], v[4:5], s[12:13], v[2:3]
	v_fma_f64 v[84:85], v[0:1], s[12:13], v[84:85]
	ds_load_b128 v[0:3], v8 offset:8000
	ds_load_b128 v[86:89], v8 offset:2000
	;; [unrolled: 1-line block ×4, first 2 shown]
	s_waitcnt lgkmcnt(0)
	s_barrier
	buffer_gl0_inv
	scratch_load_b32 v9, off, off offset:1520 ; 4-byte Folded Reload
	s_waitcnt vmcnt(0)
	ds_store_b128 v9, v[70:73]
	ds_store_b128 v9, v[74:77] offset:400
	ds_store_b128 v9, v[62:65] offset:800
	;; [unrolled: 1-line block ×4, first 2 shown]
	v_add_f64 v[62:63], v[52:53], -v[58:59]
	v_add_f64 v[64:65], v[56:57], -v[60:61]
	;; [unrolled: 1-line block ×5, first 2 shown]
	scratch_load_b32 v9, off, off offset:1512 ; 4-byte Folded Reload
	v_add_f64 v[84:85], v[58:59], -v[60:61]
	v_add_f64 v[66:67], v[62:63], v[64:65]
	v_add_f64 v[62:63], v[54:55], -v[48:49]
	v_add_f64 v[64:65], v[50:51], -v[78:79]
	s_delay_alu instid0(VALU_DEP_1) | instskip(SKIP_1) | instid1(VALU_DEP_1)
	v_add_f64 v[68:69], v[62:63], v[64:65]
	v_add_f64 v[62:63], v[58:59], v[60:61]
	v_fma_f64 v[70:71], v[62:63], -0.5, v[86:87]
	v_add_f64 v[62:63], v[48:49], v[78:79]
	s_delay_alu instid0(VALU_DEP_1) | instskip(NEXT) | instid1(VALU_DEP_3)
	v_fma_f64 v[72:73], v[62:63], -0.5, v[88:89]
	v_fma_f64 v[62:63], v[74:75], s[14:15], v[70:71]
	v_fma_f64 v[70:71], v[74:75], s[16:17], v[70:71]
	s_delay_alu instid0(VALU_DEP_3) | instskip(NEXT) | instid1(VALU_DEP_3)
	v_fma_f64 v[64:65], v[82:83], s[16:17], v[72:73]
	v_fma_f64 v[62:63], v[76:77], s[8:9], v[62:63]
	v_fma_f64 v[72:73], v[82:83], s[14:15], v[72:73]
	s_delay_alu instid0(VALU_DEP_4) | instskip(NEXT) | instid1(VALU_DEP_4)
	v_fma_f64 v[70:71], v[76:77], s[2:3], v[70:71]
	v_fma_f64 v[64:65], v[84:85], s[2:3], v[64:65]
	s_delay_alu instid0(VALU_DEP_4) | instskip(NEXT) | instid1(VALU_DEP_4)
	v_fma_f64 v[62:63], v[66:67], s[12:13], v[62:63]
	v_fma_f64 v[72:73], v[84:85], s[8:9], v[72:73]
	s_delay_alu instid0(VALU_DEP_4) | instskip(SKIP_2) | instid1(VALU_DEP_4)
	v_fma_f64 v[66:67], v[66:67], s[12:13], v[70:71]
	v_add_f64 v[70:71], v[52:53], v[56:57]
	v_fma_f64 v[64:65], v[68:69], s[12:13], v[64:65]
	v_fma_f64 v[68:69], v[68:69], s[12:13], v[72:73]
	v_add_f64 v[72:73], v[54:55], v[50:51]
	s_delay_alu instid0(VALU_DEP_4) | instskip(SKIP_2) | instid1(VALU_DEP_4)
	v_fma_f64 v[70:71], v[70:71], -0.5, v[86:87]
	v_add_f64 v[86:87], v[86:87], v[58:59]
	v_add_f64 v[58:59], v[58:59], -v[52:53]
	v_fma_f64 v[72:73], v[72:73], -0.5, v[88:89]
	v_add_f64 v[88:89], v[88:89], v[48:49]
	s_delay_alu instid0(VALU_DEP_4) | instskip(SKIP_1) | instid1(VALU_DEP_3)
	v_add_f64 v[52:53], v[86:87], v[52:53]
	v_add_f64 v[48:49], v[48:49], -v[54:55]
	v_add_f64 v[86:87], v[88:89], v[54:55]
	s_delay_alu instid0(VALU_DEP_3) | instskip(SKIP_1) | instid1(VALU_DEP_3)
	v_add_f64 v[52:53], v[52:53], v[56:57]
	v_add_f64 v[56:57], v[60:61], -v[56:57]
	v_add_f64 v[54:55], v[86:87], v[50:51]
	s_delay_alu instid0(VALU_DEP_3)
	v_add_f64 v[52:53], v[52:53], v[60:61]
	v_add_f64 v[50:51], v[78:79], -v[50:51]
	v_fma_f64 v[60:61], v[76:77], s[16:17], v[70:71]
	v_fma_f64 v[70:71], v[76:77], s[14:15], v[70:71]
	;; [unrolled: 1-line block ×4, first 2 shown]
	v_add_f64 v[56:57], v[58:59], v[56:57]
	v_add_f64 v[54:55], v[54:55], v[78:79]
	;; [unrolled: 1-line block ×3, first 2 shown]
	v_fma_f64 v[48:49], v[74:75], s[8:9], v[60:61]
	v_fma_f64 v[60:61], v[74:75], s[2:3], v[70:71]
	;; [unrolled: 1-line block ×4, first 2 shown]
	s_delay_alu instid0(VALU_DEP_4) | instskip(NEXT) | instid1(VALU_DEP_4)
	v_fma_f64 v[48:49], v[56:57], s[12:13], v[48:49]
	v_fma_f64 v[56:57], v[56:57], s[12:13], v[60:61]
	s_delay_alu instid0(VALU_DEP_4) | instskip(NEXT) | instid1(VALU_DEP_4)
	v_fma_f64 v[50:51], v[58:59], s[12:13], v[50:51]
	v_fma_f64 v[58:59], v[58:59], s[12:13], v[70:71]
	s_waitcnt vmcnt(0)
	ds_store_b128 v9, v[52:55]
	ds_store_b128 v9, v[48:51] offset:400
	ds_store_b128 v9, v[62:65] offset:800
	;; [unrolled: 1-line block ×4, first 2 shown]
	v_add_f64 v[48:49], v[30:31], -v[34:35]
	v_add_f64 v[50:51], v[44:45], -v[40:41]
	scratch_load_b32 v9, off, off offset:1424 ; 4-byte Folded Reload
	v_add_f64 v[60:61], v[32:33], -v[38:39]
	v_add_f64 v[64:65], v[30:31], -v[44:45]
	;; [unrolled: 1-line block ×4, first 2 shown]
	v_add_f64 v[68:69], v[90:91], v[34:35]
	v_add_f64 v[70:71], v[92:93], v[28:29]
	;; [unrolled: 1-line block ×3, first 2 shown]
	v_add_f64 v[48:49], v[32:33], -v[28:29]
	v_add_f64 v[50:51], v[38:39], -v[42:43]
	s_delay_alu instid0(VALU_DEP_1) | instskip(SKIP_2) | instid1(VALU_DEP_2)
	v_add_f64 v[54:55], v[48:49], v[50:51]
	v_add_f64 v[48:49], v[34:35], v[40:41]
	v_add_f64 v[34:35], v[34:35], -v[30:31]
	v_fma_f64 v[56:57], v[48:49], -0.5, v[90:91]
	v_add_f64 v[48:49], v[28:29], v[42:43]
	s_delay_alu instid0(VALU_DEP_1) | instskip(NEXT) | instid1(VALU_DEP_3)
	v_fma_f64 v[58:59], v[48:49], -0.5, v[92:93]
	v_fma_f64 v[48:49], v[60:61], s[14:15], v[56:57]
	v_fma_f64 v[56:57], v[60:61], s[16:17], v[56:57]
	s_delay_alu instid0(VALU_DEP_3) | instskip(SKIP_1) | instid1(VALU_DEP_4)
	v_fma_f64 v[50:51], v[64:65], s[16:17], v[58:59]
	v_fma_f64 v[58:59], v[64:65], s[14:15], v[58:59]
	;; [unrolled: 1-line block ×3, first 2 shown]
	s_delay_alu instid0(VALU_DEP_4) | instskip(NEXT) | instid1(VALU_DEP_4)
	v_fma_f64 v[56:57], v[62:63], s[2:3], v[56:57]
	v_fma_f64 v[50:51], v[66:67], s[2:3], v[50:51]
	s_delay_alu instid0(VALU_DEP_4) | instskip(NEXT) | instid1(VALU_DEP_4)
	v_fma_f64 v[58:59], v[66:67], s[8:9], v[58:59]
	v_fma_f64 v[48:49], v[52:53], s[12:13], v[48:49]
	s_delay_alu instid0(VALU_DEP_4)
	v_fma_f64 v[52:53], v[52:53], s[12:13], v[56:57]
	v_add_f64 v[56:57], v[30:31], v[44:45]
	v_add_f64 v[30:31], v[68:69], v[30:31]
	;; [unrolled: 1-line block ×3, first 2 shown]
	v_fma_f64 v[50:51], v[54:55], s[12:13], v[50:51]
	v_fma_f64 v[54:55], v[54:55], s[12:13], v[58:59]
	v_add_f64 v[58:59], v[32:33], v[38:39]
	v_add_f64 v[32:33], v[28:29], -v[32:33]
	v_fma_f64 v[56:57], v[56:57], -0.5, v[90:91]
	v_add_f64 v[28:29], v[30:31], v[44:45]
	v_add_f64 v[30:31], v[68:69], v[38:39]
	v_add_f64 v[44:45], v[40:41], -v[44:45]
	v_add_f64 v[38:39], v[42:43], -v[38:39]
	v_fma_f64 v[58:59], v[58:59], -0.5, v[92:93]
	v_add_f64 v[28:29], v[28:29], v[40:41]
	v_add_f64 v[30:31], v[30:31], v[42:43]
	v_fma_f64 v[40:41], v[62:63], s[16:17], v[56:57]
	v_fma_f64 v[42:43], v[62:63], s[14:15], v[56:57]
	v_add_f64 v[44:45], v[34:35], v[44:45]
	v_add_f64 v[62:63], v[32:33], v[38:39]
	v_fma_f64 v[56:57], v[66:67], s[14:15], v[58:59]
	v_fma_f64 v[58:59], v[66:67], s[16:17], v[58:59]
	;; [unrolled: 1-line block ×4, first 2 shown]
	v_add_f64 v[42:43], v[36:37], -v[80:81]
	v_fma_f64 v[34:35], v[64:65], s[2:3], v[56:57]
	v_fma_f64 v[40:41], v[64:65], s[8:9], v[58:59]
	;; [unrolled: 1-line block ×4, first 2 shown]
	v_add_f64 v[44:45], v[24:25], -v[186:187]
	v_fma_f64 v[34:35], v[62:63], s[12:13], v[34:35]
	v_fma_f64 v[40:41], v[62:63], s[12:13], v[40:41]
	s_waitcnt vmcnt(0)
	ds_store_b128 v9, v[28:31]
	ds_store_b128 v9, v[32:35] offset:400
	ds_store_b128 v9, v[48:51] offset:800
	;; [unrolled: 1-line block ×4, first 2 shown]
	v_add_f64 v[28:29], v[26:27], -v[46:47]
	v_add_f64 v[30:31], v[130:131], -v[180:181]
	scratch_load_b32 v9, off, off offset:1224 ; 4-byte Folded Reload
	v_add_f64 v[48:49], v[26:27], -v[130:131]
	v_add_f64 v[50:51], v[46:47], -v[180:181]
	v_add_f64 v[32:33], v[28:29], v[30:31]
	v_add_f64 v[28:29], v[36:37], -v[24:25]
	v_add_f64 v[30:31], v[80:81], -v[186:187]
	s_delay_alu instid0(VALU_DEP_1) | instskip(SKIP_1) | instid1(VALU_DEP_1)
	v_add_f64 v[34:35], v[28:29], v[30:31]
	v_add_f64 v[28:29], v[46:47], v[180:181]
	v_fma_f64 v[38:39], v[28:29], -0.5, v[4:5]
	v_add_f64 v[28:29], v[24:25], v[186:187]
	s_delay_alu instid0(VALU_DEP_1) | instskip(NEXT) | instid1(VALU_DEP_3)
	v_fma_f64 v[40:41], v[28:29], -0.5, v[6:7]
	v_fma_f64 v[28:29], v[42:43], s[14:15], v[38:39]
	v_fma_f64 v[38:39], v[42:43], s[16:17], v[38:39]
	s_delay_alu instid0(VALU_DEP_3) | instskip(SKIP_1) | instid1(VALU_DEP_4)
	v_fma_f64 v[30:31], v[48:49], s[16:17], v[40:41]
	v_fma_f64 v[40:41], v[48:49], s[14:15], v[40:41]
	;; [unrolled: 1-line block ×3, first 2 shown]
	s_delay_alu instid0(VALU_DEP_4) | instskip(NEXT) | instid1(VALU_DEP_4)
	v_fma_f64 v[38:39], v[44:45], s[2:3], v[38:39]
	v_fma_f64 v[30:31], v[50:51], s[2:3], v[30:31]
	s_delay_alu instid0(VALU_DEP_4) | instskip(NEXT) | instid1(VALU_DEP_4)
	v_fma_f64 v[40:41], v[50:51], s[8:9], v[40:41]
	v_fma_f64 v[28:29], v[32:33], s[12:13], v[28:29]
	s_delay_alu instid0(VALU_DEP_4) | instskip(SKIP_4) | instid1(VALU_DEP_4)
	v_fma_f64 v[32:33], v[32:33], s[12:13], v[38:39]
	v_add_f64 v[38:39], v[26:27], v[130:131]
	v_fma_f64 v[30:31], v[34:35], s[12:13], v[30:31]
	v_fma_f64 v[34:35], v[34:35], s[12:13], v[40:41]
	v_add_f64 v[40:41], v[36:37], v[80:81]
	v_fma_f64 v[38:39], v[38:39], -0.5, v[4:5]
	v_add_f64 v[4:5], v[4:5], v[46:47]
	v_add_f64 v[46:47], v[46:47], -v[26:27]
	s_delay_alu instid0(VALU_DEP_4)
	v_fma_f64 v[40:41], v[40:41], -0.5, v[6:7]
	v_add_f64 v[6:7], v[6:7], v[24:25]
	v_add_f64 v[24:25], v[24:25], -v[36:37]
	v_add_f64 v[4:5], v[4:5], v[26:27]
	v_add_f64 v[26:27], v[180:181], -v[130:131]
	v_fma_f64 v[52:53], v[44:45], s[16:17], v[38:39]
	v_fma_f64 v[38:39], v[44:45], s[14:15], v[38:39]
	;; [unrolled: 1-line block ×3, first 2 shown]
	v_add_f64 v[6:7], v[6:7], v[36:37]
	v_add_f64 v[36:37], v[186:187], -v[80:81]
	v_fma_f64 v[40:41], v[50:51], s[16:17], v[40:41]
	v_add_f64 v[4:5], v[4:5], v[130:131]
	v_add_f64 v[46:47], v[46:47], v[26:27]
	v_fma_f64 v[26:27], v[48:49], s[2:3], v[44:45]
	v_add_f64 v[6:7], v[6:7], v[80:81]
	v_add_f64 v[50:51], v[24:25], v[36:37]
	v_fma_f64 v[24:25], v[42:43], s[8:9], v[52:53]
	v_fma_f64 v[36:37], v[42:43], s[2:3], v[38:39]
	;; [unrolled: 1-line block ×3, first 2 shown]
	v_add_f64 v[4:5], v[4:5], v[180:181]
	v_add_f64 v[6:7], v[6:7], v[186:187]
	v_fma_f64 v[26:27], v[50:51], s[12:13], v[26:27]
	v_fma_f64 v[24:25], v[46:47], s[12:13], v[24:25]
	v_fma_f64 v[36:37], v[46:47], s[12:13], v[36:37]
	v_fma_f64 v[38:39], v[50:51], s[12:13], v[38:39]
	s_waitcnt vmcnt(0)
	ds_store_b128 v9, v[4:7]
	ds_store_b128 v9, v[24:27] offset:400
	ds_store_b128 v9, v[28:31] offset:800
	;; [unrolled: 1-line block ×4, first 2 shown]
	v_add_f64 v[4:5], v[14:15], -v[10:11]
	v_add_f64 v[6:7], v[18:19], -v[20:21]
	;; [unrolled: 1-line block ×6, first 2 shown]
	v_add_f64 v[24:25], v[4:5], v[6:7]
	v_add_f64 v[4:5], v[16:17], -v[204:205]
	v_add_f64 v[6:7], v[12:13], -v[22:23]
	s_delay_alu instid0(VALU_DEP_1) | instskip(SKIP_1) | instid1(VALU_DEP_1)
	v_add_f64 v[26:27], v[4:5], v[6:7]
	v_add_f64 v[4:5], v[10:11], v[20:21]
	v_fma_f64 v[28:29], v[4:5], -0.5, v[0:1]
	v_add_f64 v[4:5], v[204:205], v[22:23]
	s_delay_alu instid0(VALU_DEP_1) | instskip(NEXT) | instid1(VALU_DEP_3)
	v_fma_f64 v[30:31], v[4:5], -0.5, v[2:3]
	v_fma_f64 v[4:5], v[32:33], s[14:15], v[28:29]
	v_fma_f64 v[28:29], v[32:33], s[16:17], v[28:29]
	s_delay_alu instid0(VALU_DEP_3) | instskip(NEXT) | instid1(VALU_DEP_3)
	v_fma_f64 v[6:7], v[36:37], s[16:17], v[30:31]
	v_fma_f64 v[4:5], v[34:35], s[8:9], v[4:5]
	;; [unrolled: 1-line block ×3, first 2 shown]
	s_delay_alu instid0(VALU_DEP_4) | instskip(NEXT) | instid1(VALU_DEP_4)
	v_fma_f64 v[28:29], v[34:35], s[2:3], v[28:29]
	v_fma_f64 v[6:7], v[38:39], s[2:3], v[6:7]
	s_delay_alu instid0(VALU_DEP_4) | instskip(NEXT) | instid1(VALU_DEP_4)
	v_fma_f64 v[4:5], v[24:25], s[12:13], v[4:5]
	v_fma_f64 v[30:31], v[38:39], s[8:9], v[30:31]
	s_delay_alu instid0(VALU_DEP_4) | instskip(SKIP_2) | instid1(VALU_DEP_4)
	v_fma_f64 v[24:25], v[24:25], s[12:13], v[28:29]
	v_add_f64 v[28:29], v[14:15], v[18:19]
	v_fma_f64 v[6:7], v[26:27], s[12:13], v[6:7]
	v_fma_f64 v[26:27], v[26:27], s[12:13], v[30:31]
	v_add_f64 v[30:31], v[16:17], v[12:13]
	s_delay_alu instid0(VALU_DEP_4) | instskip(SKIP_2) | instid1(VALU_DEP_4)
	v_fma_f64 v[28:29], v[28:29], -0.5, v[0:1]
	v_add_f64 v[0:1], v[0:1], v[10:11]
	v_add_f64 v[9:10], v[10:11], -v[14:15]
	v_fma_f64 v[30:31], v[30:31], -0.5, v[2:3]
	v_add_f64 v[2:3], v[2:3], v[204:205]
	s_delay_alu instid0(VALU_DEP_4) | instskip(SKIP_1) | instid1(VALU_DEP_3)
	v_add_f64 v[0:1], v[0:1], v[14:15]
	v_add_f64 v[14:15], v[204:205], -v[16:17]
	v_add_f64 v[2:3], v[2:3], v[16:17]
	s_delay_alu instid0(VALU_DEP_3) | instskip(SKIP_2) | instid1(VALU_DEP_4)
	v_add_f64 v[0:1], v[0:1], v[18:19]
	v_add_f64 v[16:17], v[20:21], -v[18:19]
	v_fma_f64 v[18:19], v[34:35], s[16:17], v[28:29]
	v_add_f64 v[2:3], v[2:3], v[12:13]
	s_delay_alu instid0(VALU_DEP_4)
	v_add_f64 v[0:1], v[0:1], v[20:21]
	v_add_f64 v[11:12], v[22:23], -v[12:13]
	v_fma_f64 v[20:21], v[34:35], s[14:15], v[28:29]
	v_fma_f64 v[28:29], v[38:39], s[16:17], v[30:31]
	v_add_f64 v[16:17], v[9:10], v[16:17]
	v_fma_f64 v[9:10], v[32:33], s[8:9], v[18:19]
	v_add_f64 v[2:3], v[2:3], v[22:23]
	;; [unrolled: 2-line block ×3, first 2 shown]
	v_fma_f64 v[13:14], v[32:33], s[2:3], v[20:21]
	v_fma_f64 v[18:19], v[36:37], s[8:9], v[28:29]
	v_fma_f64 v[9:10], v[16:17], s[12:13], v[9:10]
	v_fma_f64 v[11:12], v[36:37], s[2:3], v[22:23]
	s_delay_alu instid0(VALU_DEP_4)
	v_fma_f64 v[13:14], v[16:17], s[12:13], v[13:14]
	scratch_load_b32 v17, off, off offset:1008 ; 4-byte Folded Reload
	v_fma_f64 v[15:16], v[30:31], s[12:13], v[18:19]
	v_fma_f64 v[11:12], v[30:31], s[12:13], v[11:12]
	s_waitcnt vmcnt(0)
	ds_store_b128 v17, v[0:3]
	ds_store_b128 v17, v[9:12] offset:400
	ds_store_b128 v17, v[4:7] offset:800
	ds_store_b128 v17, v[24:27] offset:1200
	ds_store_b128 v17, v[13:16] offset:1600
	s_waitcnt lgkmcnt(0)
	s_barrier
	buffer_gl0_inv
	ds_load_b128 v[0:3], v8 offset:10000
	scratch_load_b128 v[9:12], off, off offset:1276 ; 16-byte Folded Reload
	s_waitcnt lgkmcnt(0)
	v_mul_f64 v[4:5], v[250:251], v[2:3]
	s_delay_alu instid0(VALU_DEP_1) | instskip(SKIP_1) | instid1(VALU_DEP_1)
	v_fma_f64 v[13:14], v[248:249], v[0:1], v[4:5]
	v_mul_f64 v[0:1], v[250:251], v[0:1]
	v_fma_f64 v[15:16], v[248:249], v[2:3], -v[0:1]
	ds_load_b128 v[0:3], v8 offset:12000
	s_waitcnt lgkmcnt(0)
	v_mul_f64 v[4:5], v[250:251], v[2:3]
	s_delay_alu instid0(VALU_DEP_1) | instskip(SKIP_1) | instid1(VALU_DEP_1)
	v_fma_f64 v[34:35], v[248:249], v[0:1], v[4:5]
	v_mul_f64 v[0:1], v[250:251], v[0:1]
	v_fma_f64 v[46:47], v[248:249], v[2:3], -v[0:1]
	ds_load_b128 v[0:3], v8 offset:20000
	;; [unrolled: 7-line block ×4, first 2 shown]
	s_waitcnt lgkmcnt(0)
	v_mul_f64 v[4:5], v[139:140], v[2:3]
	s_delay_alu instid0(VALU_DEP_1) | instskip(SKIP_1) | instid1(VALU_DEP_2)
	v_fma_f64 v[40:41], v[137:138], v[0:1], v[4:5]
	v_mul_f64 v[0:1], v[139:140], v[0:1]
	v_add_f64 v[88:89], v[17:18], -v[40:41]
	s_delay_alu instid0(VALU_DEP_2) | instskip(SKIP_4) | instid1(VALU_DEP_2)
	v_fma_f64 v[42:43], v[137:138], v[2:3], -v[0:1]
	ds_load_b128 v[0:3], v8 offset:32000
	s_waitcnt lgkmcnt(0)
	v_mul_f64 v[4:5], v[139:140], v[2:3]
	v_add_f64 v[84:85], v[38:39], -v[42:43]
	v_fma_f64 v[74:75], v[137:138], v[0:1], v[4:5]
	v_mul_f64 v[0:1], v[139:140], v[0:1]
	s_delay_alu instid0(VALU_DEP_2) | instskip(NEXT) | instid1(VALU_DEP_2)
	v_add_f64 v[92:93], v[50:51], -v[74:75]
	v_fma_f64 v[76:77], v[137:138], v[2:3], -v[0:1]
	ds_load_b128 v[0:3], v8 offset:40000
	s_waitcnt lgkmcnt(0)
	v_mul_f64 v[4:5], v[254:255], v[2:3]
	s_delay_alu instid0(VALU_DEP_1) | instskip(SKIP_1) | instid1(VALU_DEP_2)
	v_fma_f64 v[44:45], v[252:253], v[0:1], v[4:5]
	v_mul_f64 v[0:1], v[254:255], v[0:1]
	v_add_f64 v[86:87], v[13:14], -v[44:45]
	s_delay_alu instid0(VALU_DEP_2) | instskip(SKIP_4) | instid1(VALU_DEP_2)
	v_fma_f64 v[60:61], v[252:253], v[2:3], -v[0:1]
	ds_load_b128 v[0:3], v8 offset:42000
	s_waitcnt lgkmcnt(0)
	v_mul_f64 v[4:5], v[254:255], v[2:3]
	v_add_f64 v[70:71], v[15:16], -v[60:61]
	v_fma_f64 v[78:79], v[252:253], v[0:1], v[4:5]
	v_mul_f64 v[0:1], v[254:255], v[0:1]
	s_delay_alu instid0(VALU_DEP_2) | instskip(NEXT) | instid1(VALU_DEP_2)
	v_add_f64 v[90:91], v[34:35], -v[78:79]
	v_fma_f64 v[82:83], v[252:253], v[2:3], -v[0:1]
	ds_load_b128 v[0:3], v8 offset:14000
	s_waitcnt vmcnt(0) lgkmcnt(0)
	v_mul_f64 v[4:5], v[11:12], v[2:3]
	s_delay_alu instid0(VALU_DEP_1) | instskip(SKIP_1) | instid1(VALU_DEP_1)
	v_fma_f64 v[94:95], v[9:10], v[0:1], v[4:5]
	v_mul_f64 v[0:1], v[11:12], v[0:1]
	v_fma_f64 v[96:97], v[9:10], v[2:3], -v[0:1]
	scratch_load_b128 v[9:12], off, off offset:1292 ; 16-byte Folded Reload
	ds_load_b128 v[0:3], v8 offset:24000
	s_waitcnt vmcnt(0) lgkmcnt(0)
	v_mul_f64 v[4:5], v[11:12], v[2:3]
	s_delay_alu instid0(VALU_DEP_1) | instskip(SKIP_1) | instid1(VALU_DEP_1)
	v_fma_f64 v[98:99], v[9:10], v[0:1], v[4:5]
	v_mul_f64 v[0:1], v[11:12], v[0:1]
	v_fma_f64 v[100:101], v[9:10], v[2:3], -v[0:1]
	scratch_load_b128 v[9:12], off, off offset:1308 ; 16-byte Folded Reload
	ds_load_b128 v[0:3], v8 offset:34000
	s_waitcnt vmcnt(0) lgkmcnt(0)
	v_mul_f64 v[4:5], v[11:12], v[2:3]
	s_delay_alu instid0(VALU_DEP_1) | instskip(SKIP_1) | instid1(VALU_DEP_2)
	v_fma_f64 v[102:103], v[9:10], v[0:1], v[4:5]
	v_mul_f64 v[0:1], v[11:12], v[0:1]
	v_add_f64 v[114:115], v[98:99], -v[102:103]
	s_delay_alu instid0(VALU_DEP_2)
	v_fma_f64 v[104:105], v[9:10], v[2:3], -v[0:1]
	scratch_load_b128 v[9:12], off, off offset:1324 ; 16-byte Folded Reload
	ds_load_b128 v[0:3], v8 offset:44000
	v_add_f64 v[110:111], v[100:101], -v[104:105]
	s_waitcnt vmcnt(0) lgkmcnt(0)
	v_mul_f64 v[4:5], v[11:12], v[2:3]
	s_delay_alu instid0(VALU_DEP_1) | instskip(SKIP_1) | instid1(VALU_DEP_2)
	v_fma_f64 v[106:107], v[9:10], v[0:1], v[4:5]
	v_mul_f64 v[0:1], v[11:12], v[0:1]
	v_add_f64 v[116:117], v[94:95], -v[106:107]
	s_delay_alu instid0(VALU_DEP_2)
	v_fma_f64 v[108:109], v[9:10], v[2:3], -v[0:1]
	scratch_load_b128 v[9:12], off, off offset:1460 ; 16-byte Folded Reload
	ds_load_b128 v[0:3], v8 offset:16000
	v_add_f64 v[112:113], v[96:97], -v[108:109]
	s_waitcnt vmcnt(0) lgkmcnt(0)
	v_mul_f64 v[4:5], v[11:12], v[2:3]
	s_delay_alu instid0(VALU_DEP_1) | instskip(SKIP_1) | instid1(VALU_DEP_1)
	v_fma_f64 v[80:81], v[9:10], v[0:1], v[4:5]
	v_mul_f64 v[0:1], v[11:12], v[0:1]
	v_fma_f64 v[64:65], v[9:10], v[2:3], -v[0:1]
	scratch_load_b128 v[9:12], off, off offset:1492 ; 16-byte Folded Reload
	ds_load_b128 v[0:3], v8 offset:26000
	s_waitcnt vmcnt(0) lgkmcnt(0)
	v_mul_f64 v[4:5], v[11:12], v[2:3]
	s_delay_alu instid0(VALU_DEP_1) | instskip(SKIP_1) | instid1(VALU_DEP_1)
	v_fma_f64 v[66:67], v[9:10], v[0:1], v[4:5]
	v_mul_f64 v[0:1], v[11:12], v[0:1]
	v_fma_f64 v[56:57], v[9:10], v[2:3], -v[0:1]
	ds_load_b128 v[0:3], v8 offset:36000
	ds_load_b128 v[9:12], v8
	s_waitcnt lgkmcnt(1)
	v_mul_f64 v[4:5], v[240:241], v[2:3]
	s_delay_alu instid0(VALU_DEP_1) | instskip(SKIP_1) | instid1(VALU_DEP_1)
	v_fma_f64 v[58:59], v[238:239], v[0:1], v[4:5]
	v_mul_f64 v[0:1], v[240:241], v[0:1]
	v_fma_f64 v[52:53], v[238:239], v[2:3], -v[0:1]
	ds_load_b128 v[0:3], v8 offset:46000
	s_waitcnt lgkmcnt(0)
	v_mul_f64 v[4:5], v[244:245], v[2:3]
	s_delay_alu instid0(VALU_DEP_1) | instskip(SKIP_1) | instid1(VALU_DEP_1)
	v_fma_f64 v[54:55], v[242:243], v[0:1], v[4:5]
	v_mul_f64 v[0:1], v[244:245], v[0:1]
	v_fma_f64 v[48:49], v[242:243], v[2:3], -v[0:1]
	ds_load_b128 v[0:3], v8 offset:18000
	;; [unrolled: 7-line block ×5, first 2 shown]
	s_waitcnt lgkmcnt(0)
	v_mul_f64 v[4:5], v[216:217], v[2:3]
	s_delay_alu instid0(VALU_DEP_1) | instskip(SKIP_1) | instid1(VALU_DEP_1)
	v_fma_f64 v[36:37], v[214:215], v[0:1], v[4:5]
	v_mul_f64 v[0:1], v[216:217], v[0:1]
	v_fma_f64 v[32:33], v[214:215], v[2:3], -v[0:1]
	v_add_f64 v[0:1], v[13:14], -v[17:18]
	v_add_f64 v[2:3], v[44:45], -v[40:41]
	s_delay_alu instid0(VALU_DEP_1) | instskip(SKIP_2) | instid1(VALU_DEP_1)
	v_add_f64 v[4:5], v[0:1], v[2:3]
	v_add_f64 v[0:1], v[15:16], -v[38:39]
	v_add_f64 v[2:3], v[60:61], -v[42:43]
	v_add_f64 v[6:7], v[0:1], v[2:3]
	v_add_f64 v[0:1], v[17:18], v[40:41]
	s_delay_alu instid0(VALU_DEP_1) | instskip(SKIP_1) | instid1(VALU_DEP_1)
	v_fma_f64 v[62:63], v[0:1], -0.5, v[9:10]
	v_add_f64 v[0:1], v[38:39], v[42:43]
	v_fma_f64 v[68:69], v[0:1], -0.5, v[11:12]
	s_delay_alu instid0(VALU_DEP_3) | instskip(SKIP_1) | instid1(VALU_DEP_3)
	v_fma_f64 v[0:1], v[70:71], s[16:17], v[62:63]
	v_fma_f64 v[62:63], v[70:71], s[14:15], v[62:63]
	;; [unrolled: 1-line block ×4, first 2 shown]
	s_delay_alu instid0(VALU_DEP_4) | instskip(NEXT) | instid1(VALU_DEP_4)
	v_fma_f64 v[0:1], v[84:85], s[8:9], v[0:1]
	v_fma_f64 v[62:63], v[84:85], s[2:3], v[62:63]
	s_delay_alu instid0(VALU_DEP_4) | instskip(NEXT) | instid1(VALU_DEP_4)
	v_fma_f64 v[2:3], v[88:89], s[2:3], v[2:3]
	v_fma_f64 v[68:69], v[88:89], s[8:9], v[68:69]
	;; [unrolled: 3-line block ×3, first 2 shown]
	v_add_f64 v[62:63], v[13:14], v[44:45]
	v_fma_f64 v[2:3], v[6:7], s[12:13], v[2:3]
	v_fma_f64 v[6:7], v[6:7], s[12:13], v[68:69]
	v_add_f64 v[68:69], v[15:16], v[60:61]
	s_delay_alu instid0(VALU_DEP_4) | instskip(SKIP_2) | instid1(VALU_DEP_4)
	v_fma_f64 v[62:63], v[62:63], -0.5, v[9:10]
	v_add_f64 v[9:10], v[9:10], v[13:14]
	v_add_f64 v[13:14], v[17:18], -v[13:14]
	v_fma_f64 v[68:69], v[68:69], -0.5, v[11:12]
	v_add_f64 v[11:12], v[11:12], v[15:16]
	s_delay_alu instid0(VALU_DEP_4) | instskip(NEXT) | instid1(VALU_DEP_2)
	v_add_f64 v[9:10], v[9:10], v[17:18]
	v_add_f64 v[11:12], v[11:12], v[38:39]
	v_add_f64 v[38:39], v[38:39], -v[15:16]
	s_delay_alu instid0(VALU_DEP_3) | instskip(SKIP_1) | instid1(VALU_DEP_4)
	v_add_f64 v[9:10], v[9:10], v[40:41]
	v_add_f64 v[40:41], v[40:41], -v[44:45]
	v_add_f64 v[11:12], v[11:12], v[42:43]
	s_delay_alu instid0(VALU_DEP_3)
	v_add_f64 v[16:17], v[9:10], v[44:45]
	v_add_f64 v[9:10], v[42:43], -v[60:61]
	v_fma_f64 v[42:43], v[84:85], s[16:17], v[62:63]
	v_fma_f64 v[44:45], v[88:89], s[16:17], v[68:69]
	v_add_f64 v[13:14], v[13:14], v[40:41]
	v_add_f64 v[18:19], v[11:12], v[60:61]
	v_fma_f64 v[11:12], v[84:85], s[14:15], v[62:63]
	v_fma_f64 v[60:61], v[88:89], s[14:15], v[68:69]
	v_add_f64 v[9:10], v[38:39], v[9:10]
	v_fma_f64 v[42:43], v[70:71], s[2:3], v[42:43]
	v_fma_f64 v[40:41], v[86:87], s[2:3], v[44:45]
	v_add_f64 v[88:89], v[72:73], -v[76:77]
	v_fma_f64 v[11:12], v[70:71], s[8:9], v[11:12]
	v_fma_f64 v[44:45], v[86:87], s[8:9], v[60:61]
	v_add_f64 v[60:61], v[50:51], v[74:75]
	v_add_f64 v[86:87], v[46:47], -v[82:83]
	v_fma_f64 v[40:41], v[9:10], s[12:13], v[40:41]
	v_fma_f64 v[38:39], v[13:14], s[12:13], v[11:12]
	;; [unrolled: 1-line block ×4, first 2 shown]
	v_add_f64 v[9:10], v[34:35], -v[50:51]
	v_add_f64 v[42:43], v[78:79], -v[74:75]
	v_add_f64 v[44:45], v[82:83], -v[76:77]
	s_delay_alu instid0(VALU_DEP_2) | instskip(SKIP_1) | instid1(VALU_DEP_1)
	v_add_f64 v[9:10], v[9:10], v[42:43]
	v_add_f64 v[42:43], v[46:47], -v[72:73]
	v_add_f64 v[70:71], v[42:43], v[44:45]
	ds_load_b128 v[42:45], v8 offset:2000
	s_waitcnt lgkmcnt(0)
	v_fma_f64 v[68:69], v[60:61], -0.5, v[42:43]
	v_add_f64 v[60:61], v[72:73], v[76:77]
	s_delay_alu instid0(VALU_DEP_1) | instskip(NEXT) | instid1(VALU_DEP_3)
	v_fma_f64 v[84:85], v[60:61], -0.5, v[44:45]
	v_fma_f64 v[60:61], v[86:87], s[16:17], v[68:69]
	v_fma_f64 v[68:69], v[86:87], s[14:15], v[68:69]
	s_delay_alu instid0(VALU_DEP_3) | instskip(NEXT) | instid1(VALU_DEP_3)
	v_fma_f64 v[62:63], v[90:91], s[14:15], v[84:85]
	v_fma_f64 v[60:61], v[88:89], s[8:9], v[60:61]
	;; [unrolled: 1-line block ×3, first 2 shown]
	s_delay_alu instid0(VALU_DEP_4) | instskip(NEXT) | instid1(VALU_DEP_4)
	v_fma_f64 v[68:69], v[88:89], s[2:3], v[68:69]
	v_fma_f64 v[62:63], v[92:93], s[2:3], v[62:63]
	s_delay_alu instid0(VALU_DEP_4) | instskip(NEXT) | instid1(VALU_DEP_4)
	v_fma_f64 v[60:61], v[9:10], s[12:13], v[60:61]
	v_fma_f64 v[84:85], v[92:93], s[8:9], v[84:85]
	s_delay_alu instid0(VALU_DEP_4) | instskip(SKIP_2) | instid1(VALU_DEP_4)
	v_fma_f64 v[68:69], v[9:10], s[12:13], v[68:69]
	v_add_f64 v[9:10], v[34:35], v[78:79]
	v_fma_f64 v[62:63], v[70:71], s[12:13], v[62:63]
	v_fma_f64 v[70:71], v[70:71], s[12:13], v[84:85]
	v_add_f64 v[84:85], v[46:47], v[82:83]
	s_delay_alu instid0(VALU_DEP_4) | instskip(SKIP_2) | instid1(VALU_DEP_4)
	v_fma_f64 v[9:10], v[9:10], -0.5, v[42:43]
	v_add_f64 v[42:43], v[42:43], v[34:35]
	v_add_f64 v[34:35], v[50:51], -v[34:35]
	v_fma_f64 v[84:85], v[84:85], -0.5, v[44:45]
	v_add_f64 v[44:45], v[44:45], v[46:47]
	s_delay_alu instid0(VALU_DEP_4) | instskip(SKIP_2) | instid1(VALU_DEP_4)
	v_add_f64 v[42:43], v[42:43], v[50:51]
	v_add_f64 v[50:51], v[74:75], -v[78:79]
	v_add_f64 v[46:47], v[72:73], -v[46:47]
	v_add_f64 v[44:45], v[44:45], v[72:73]
	s_delay_alu instid0(VALU_DEP_4)
	v_add_f64 v[42:43], v[42:43], v[74:75]
	v_fma_f64 v[74:75], v[88:89], s[14:15], v[9:10]
	v_fma_f64 v[9:10], v[88:89], s[16:17], v[9:10]
	v_add_f64 v[72:73], v[76:77], -v[82:83]
	v_add_f64 v[34:35], v[34:35], v[50:51]
	v_add_f64 v[44:45], v[44:45], v[76:77]
	;; [unrolled: 1-line block ×3, first 2 shown]
	v_fma_f64 v[76:77], v[92:93], s[16:17], v[84:85]
	v_fma_f64 v[78:79], v[92:93], s[14:15], v[84:85]
	;; [unrolled: 1-line block ×4, first 2 shown]
	v_add_f64 v[46:47], v[46:47], v[72:73]
	v_add_f64 v[44:45], v[44:45], v[82:83]
	ds_load_b128 v[82:85], v8 offset:4000
	v_fma_f64 v[74:75], v[90:91], s[2:3], v[76:77]
	v_fma_f64 v[78:79], v[90:91], s[8:9], v[78:79]
	;; [unrolled: 1-line block ×4, first 2 shown]
	v_add_f64 v[9:10], v[98:99], -v[94:95]
	v_add_f64 v[34:35], v[102:103], -v[106:107]
	v_add_f64 v[50:51], v[96:97], v[108:109]
	v_fma_f64 v[74:75], v[46:47], s[12:13], v[74:75]
	v_fma_f64 v[78:79], v[46:47], s[12:13], v[78:79]
	v_add_f64 v[46:47], v[104:105], -v[108:109]
	v_add_f64 v[9:10], v[9:10], v[34:35]
	v_add_f64 v[34:35], v[100:101], -v[96:97]
	s_waitcnt lgkmcnt(0)
	v_fma_f64 v[50:51], v[50:51], -0.5, v[84:85]
	s_delay_alu instid0(VALU_DEP_2) | instskip(SKIP_1) | instid1(VALU_DEP_3)
	v_add_f64 v[34:35], v[34:35], v[46:47]
	v_add_f64 v[46:47], v[94:95], v[106:107]
	v_fma_f64 v[88:89], v[114:115], s[16:17], v[50:51]
	v_fma_f64 v[50:51], v[114:115], s[14:15], v[50:51]
	s_delay_alu instid0(VALU_DEP_3) | instskip(NEXT) | instid1(VALU_DEP_3)
	v_fma_f64 v[46:47], v[46:47], -0.5, v[82:83]
	v_fma_f64 v[88:89], v[116:117], s[2:3], v[88:89]
	s_delay_alu instid0(VALU_DEP_3) | instskip(NEXT) | instid1(VALU_DEP_3)
	v_fma_f64 v[50:51], v[116:117], s[8:9], v[50:51]
	v_fma_f64 v[86:87], v[110:111], s[14:15], v[46:47]
	;; [unrolled: 1-line block ×3, first 2 shown]
	s_delay_alu instid0(VALU_DEP_3)
	v_fma_f64 v[92:93], v[34:35], s[12:13], v[50:51]
	v_add_f64 v[50:51], v[84:85], v[96:97]
	v_fma_f64 v[88:89], v[34:35], s[12:13], v[88:89]
	v_add_f64 v[34:35], v[100:101], v[104:105]
	v_add_f64 v[96:97], v[96:97], -v[100:101]
	v_fma_f64 v[86:87], v[112:113], s[8:9], v[86:87]
	v_fma_f64 v[46:47], v[112:113], s[2:3], v[46:47]
	v_add_f64 v[50:51], v[50:51], v[100:101]
	v_fma_f64 v[34:35], v[34:35], -0.5, v[84:85]
	s_delay_alu instid0(VALU_DEP_4) | instskip(NEXT) | instid1(VALU_DEP_4)
	v_fma_f64 v[86:87], v[9:10], s[12:13], v[86:87]
	v_fma_f64 v[90:91], v[9:10], s[12:13], v[46:47]
	v_add_f64 v[9:10], v[98:99], v[102:103]
	v_add_f64 v[46:47], v[82:83], v[94:95]
	v_add_f64 v[50:51], v[50:51], v[104:105]
	v_add_f64 v[94:95], v[94:95], -v[98:99]
	v_fma_f64 v[100:101], v[116:117], s[14:15], v[34:35]
	v_fma_f64 v[34:35], v[116:117], s[16:17], v[34:35]
	v_fma_f64 v[9:10], v[9:10], -0.5, v[82:83]
	v_add_f64 v[46:47], v[46:47], v[98:99]
	v_add_f64 v[84:85], v[50:51], v[108:109]
	v_add_f64 v[98:99], v[106:107], -v[102:103]
	v_fma_f64 v[34:35], v[114:115], s[8:9], v[34:35]
	v_fma_f64 v[50:51], v[112:113], s[16:17], v[9:10]
	v_add_f64 v[46:47], v[46:47], v[102:103]
	v_fma_f64 v[9:10], v[112:113], s[14:15], v[9:10]
	v_add_f64 v[98:99], v[94:95], v[98:99]
	s_delay_alu instid0(VALU_DEP_4) | instskip(NEXT) | instid1(VALU_DEP_4)
	v_fma_f64 v[50:51], v[110:111], s[8:9], v[50:51]
	v_add_f64 v[82:83], v[46:47], v[106:107]
	v_add_f64 v[46:47], v[108:109], -v[104:105]
	v_fma_f64 v[9:10], v[110:111], s[2:3], v[9:10]
	ds_load_b128 v[102:105], v8 offset:8000
	ds_load_b128 v[110:113], v8 offset:6000
	s_waitcnt lgkmcnt(0)
	s_barrier
	buffer_gl0_inv
	ds_store_b128 v8, v[16:19]
	ds_store_b128 v8, v[42:45] offset:10000
	ds_store_b128 v8, v[0:3] offset:2000
	;; [unrolled: 1-line block ×9, first 2 shown]
	scratch_load_b32 v0, off, off offset:1508 ; 4-byte Folded Reload
	v_add_f64 v[2:3], v[58:59], -v[54:55]
	v_add_f64 v[13:14], v[56:57], -v[52:53]
	;; [unrolled: 1-line block ×6, first 2 shown]
	v_fma_f64 v[94:95], v[98:99], s[12:13], v[50:51]
	v_add_f64 v[46:47], v[96:97], v[46:47]
	v_fma_f64 v[96:97], v[114:115], s[2:3], v[100:101]
	v_fma_f64 v[98:99], v[98:99], s[12:13], v[9:10]
	s_delay_alu instid0(VALU_DEP_3) | instskip(NEXT) | instid1(VALU_DEP_3)
	v_fma_f64 v[100:101], v[46:47], s[12:13], v[34:35]
	v_fma_f64 v[96:97], v[46:47], s[12:13], v[96:97]
	s_waitcnt vmcnt(0)
	ds_store_b128 v0, v[82:85] offset:20000
	ds_store_b128 v0, v[94:97] offset:22000
	ds_store_b128 v0, v[86:89] offset:24000
	ds_store_b128 v0, v[90:93] offset:26000
	ds_store_b128 v0, v[98:101] offset:28000
	v_add_f64 v[0:1], v[66:67], -v[80:81]
	v_add_f64 v[34:35], v[80:81], -v[54:55]
	v_add_f64 v[46:47], v[54:55], -v[58:59]
	s_delay_alu instid0(VALU_DEP_3) | instskip(SKIP_2) | instid1(VALU_DEP_1)
	v_add_f64 v[4:5], v[0:1], v[2:3]
	v_add_f64 v[0:1], v[56:57], -v[64:65]
	v_add_f64 v[2:3], v[52:53], -v[48:49]
	v_add_f64 v[6:7], v[0:1], v[2:3]
	v_add_f64 v[0:1], v[80:81], v[54:55]
	s_delay_alu instid0(VALU_DEP_1) | instskip(SKIP_1) | instid1(VALU_DEP_1)
	v_fma_f64 v[9:10], v[0:1], -0.5, v[110:111]
	v_add_f64 v[0:1], v[64:65], v[48:49]
	v_fma_f64 v[11:12], v[0:1], -0.5, v[112:113]
	s_delay_alu instid0(VALU_DEP_3) | instskip(SKIP_1) | instid1(VALU_DEP_3)
	v_fma_f64 v[0:1], v[13:14], s[14:15], v[9:10]
	v_fma_f64 v[9:10], v[13:14], s[16:17], v[9:10]
	;; [unrolled: 1-line block ×4, first 2 shown]
	s_delay_alu instid0(VALU_DEP_4) | instskip(NEXT) | instid1(VALU_DEP_4)
	v_fma_f64 v[0:1], v[15:16], s[8:9], v[0:1]
	v_fma_f64 v[9:10], v[15:16], s[2:3], v[9:10]
	s_delay_alu instid0(VALU_DEP_4) | instskip(NEXT) | instid1(VALU_DEP_4)
	v_fma_f64 v[2:3], v[34:35], s[2:3], v[2:3]
	v_fma_f64 v[11:12], v[34:35], s[8:9], v[11:12]
	;; [unrolled: 3-line block ×3, first 2 shown]
	v_add_f64 v[9:10], v[66:67], v[58:59]
	v_fma_f64 v[2:3], v[6:7], s[12:13], v[2:3]
	v_fma_f64 v[6:7], v[6:7], s[12:13], v[11:12]
	v_add_f64 v[11:12], v[112:113], v[64:65]
	s_delay_alu instid0(VALU_DEP_4) | instskip(SKIP_1) | instid1(VALU_DEP_3)
	v_fma_f64 v[38:39], v[9:10], -0.5, v[110:111]
	v_add_f64 v[9:10], v[56:57], v[52:53]
	v_add_f64 v[11:12], v[11:12], v[56:57]
	s_delay_alu instid0(VALU_DEP_3) | instskip(NEXT) | instid1(VALU_DEP_3)
	v_fma_f64 v[50:51], v[15:16], s[16:17], v[38:39]
	v_fma_f64 v[40:41], v[9:10], -0.5, v[112:113]
	v_add_f64 v[9:10], v[110:111], v[80:81]
	v_fma_f64 v[15:16], v[15:16], s[14:15], v[38:39]
	v_add_f64 v[11:12], v[11:12], v[52:53]
	s_delay_alu instid0(VALU_DEP_4) | instskip(NEXT) | instid1(VALU_DEP_4)
	v_fma_f64 v[38:39], v[34:35], s[14:15], v[40:41]
	v_add_f64 v[9:10], v[9:10], v[66:67]
	v_fma_f64 v[34:35], v[34:35], s[16:17], v[40:41]
	v_add_f64 v[40:41], v[42:43], v[46:47]
	;; [unrolled: 2-line block ×3, first 2 shown]
	v_add_f64 v[48:49], v[48:49], -v[52:53]
	v_fma_f64 v[15:16], v[17:18], s[2:3], v[38:39]
	v_add_f64 v[9:10], v[9:10], v[58:59]
	v_fma_f64 v[17:18], v[17:18], s[8:9], v[34:35]
	v_add_f64 v[34:35], v[22:23], -v[36:37]
	v_fma_f64 v[38:39], v[40:41], s[12:13], v[46:47]
	v_add_f64 v[42:43], v[44:45], v[48:49]
	v_fma_f64 v[44:45], v[13:14], s[8:9], v[50:51]
	v_add_f64 v[9:10], v[9:10], v[54:55]
	s_delay_alu instid0(VALU_DEP_3) | instskip(NEXT) | instid1(VALU_DEP_3)
	v_fma_f64 v[15:16], v[42:43], s[12:13], v[15:16]
	v_fma_f64 v[13:14], v[40:41], s[12:13], v[44:45]
	;; [unrolled: 1-line block ×3, first 2 shown]
	ds_store_b128 v179, v[9:12] offset:30000
	ds_store_b128 v179, v[13:16] offset:32000
	;; [unrolled: 1-line block ×5, first 2 shown]
	v_add_f64 v[0:1], v[26:27], -v[22:23]
	v_add_f64 v[2:3], v[30:31], -v[36:37]
	;; [unrolled: 1-line block ×5, first 2 shown]
	s_delay_alu instid0(VALU_DEP_4) | instskip(SKIP_2) | instid1(VALU_DEP_1)
	v_add_f64 v[4:5], v[0:1], v[2:3]
	v_add_f64 v[0:1], v[28:29], -v[20:21]
	v_add_f64 v[2:3], v[24:25], -v[32:33]
	v_add_f64 v[6:7], v[0:1], v[2:3]
	v_add_f64 v[0:1], v[22:23], v[36:37]
	s_delay_alu instid0(VALU_DEP_1) | instskip(SKIP_1) | instid1(VALU_DEP_1)
	v_fma_f64 v[9:10], v[0:1], -0.5, v[102:103]
	v_add_f64 v[0:1], v[20:21], v[32:33]
	v_fma_f64 v[11:12], v[0:1], -0.5, v[104:105]
	s_delay_alu instid0(VALU_DEP_3) | instskip(SKIP_1) | instid1(VALU_DEP_3)
	v_fma_f64 v[0:1], v[13:14], s[14:15], v[9:10]
	v_fma_f64 v[9:10], v[13:14], s[16:17], v[9:10]
	;; [unrolled: 1-line block ×3, first 2 shown]
	s_delay_alu instid0(VALU_DEP_3) | instskip(NEXT) | instid1(VALU_DEP_3)
	v_fma_f64 v[0:1], v[15:16], s[8:9], v[0:1]
	v_fma_f64 v[9:10], v[15:16], s[2:3], v[9:10]
	;; [unrolled: 1-line block ×3, first 2 shown]
	s_delay_alu instid0(VALU_DEP_4) | instskip(NEXT) | instid1(VALU_DEP_4)
	v_fma_f64 v[2:3], v[34:35], s[2:3], v[2:3]
	v_fma_f64 v[0:1], v[4:5], s[12:13], v[0:1]
	s_delay_alu instid0(VALU_DEP_4) | instskip(SKIP_3) | instid1(VALU_DEP_3)
	v_fma_f64 v[4:5], v[4:5], s[12:13], v[9:10]
	v_add_f64 v[9:10], v[26:27], v[30:31]
	v_fma_f64 v[11:12], v[34:35], s[8:9], v[11:12]
	v_fma_f64 v[2:3], v[6:7], s[12:13], v[2:3]
	v_fma_f64 v[38:39], v[9:10], -0.5, v[102:103]
	v_add_f64 v[9:10], v[28:29], v[24:25]
	s_delay_alu instid0(VALU_DEP_4) | instskip(SKIP_2) | instid1(VALU_DEP_4)
	v_fma_f64 v[6:7], v[6:7], s[12:13], v[11:12]
	v_add_f64 v[11:12], v[104:105], v[20:21]
	v_add_f64 v[19:20], v[20:21], -v[28:29]
	v_fma_f64 v[40:41], v[9:10], -0.5, v[104:105]
	v_add_f64 v[9:10], v[102:103], v[22:23]
	s_delay_alu instid0(VALU_DEP_4)
	v_add_f64 v[11:12], v[11:12], v[28:29]
	v_add_f64 v[22:23], v[22:23], -v[26:27]
	v_fma_f64 v[28:29], v[15:16], s[16:17], v[38:39]
	v_fma_f64 v[15:16], v[15:16], s[14:15], v[38:39]
	v_add_f64 v[9:10], v[9:10], v[26:27]
	v_add_f64 v[11:12], v[11:12], v[24:25]
	v_add_f64 v[26:27], v[36:37], -v[30:31]
	v_add_f64 v[24:25], v[32:33], -v[24:25]
	s_delay_alu instid0(VALU_DEP_4)
	v_add_f64 v[9:10], v[9:10], v[30:31]
	v_fma_f64 v[30:31], v[34:35], s[14:15], v[40:41]
	v_add_f64 v[11:12], v[11:12], v[32:33]
	v_fma_f64 v[32:33], v[34:35], s[16:17], v[40:41]
	v_add_f64 v[21:22], v[22:23], v[26:27]
	v_add_f64 v[19:20], v[19:20], v[24:25]
	v_fma_f64 v[23:24], v[13:14], s[8:9], v[28:29]
	v_fma_f64 v[25:26], v[13:14], s[2:3], v[15:16]
	v_add_f64 v[9:10], v[9:10], v[36:37]
	v_fma_f64 v[15:16], v[17:18], s[2:3], v[30:31]
	v_fma_f64 v[27:28], v[17:18], s[8:9], v[32:33]
	;; [unrolled: 1-line block ×4, first 2 shown]
	s_delay_alu instid0(VALU_DEP_4) | instskip(NEXT) | instid1(VALU_DEP_4)
	v_fma_f64 v[15:16], v[19:20], s[12:13], v[15:16]
	v_fma_f64 v[19:20], v[19:20], s[12:13], v[27:28]
	ds_store_b128 v125, v[9:12] offset:40000
	ds_store_b128 v125, v[13:16] offset:42000
	;; [unrolled: 1-line block ×5, first 2 shown]
	s_waitcnt lgkmcnt(0)
	s_barrier
	buffer_gl0_inv
	s_clause 0x1
	scratch_load_b128 v[9:12], off, off offset:1260
	scratch_load_b128 v[48:51], off, off offset:1244
	ds_load_b128 v[0:3], v8 offset:10000
	s_clause 0x3
	scratch_load_b128 v[32:35], off, off offset:1476
	scratch_load_b128 v[36:39], off, off offset:1428
	;; [unrolled: 1-line block ×4, first 2 shown]
	s_waitcnt vmcnt(5) lgkmcnt(0)
	v_mul_f64 v[4:5], v[11:12], v[2:3]
	s_delay_alu instid0(VALU_DEP_1) | instskip(SKIP_4) | instid1(VALU_DEP_1)
	v_fma_f64 v[72:73], v[9:10], v[0:1], v[4:5]
	v_dual_mov_b32 v4, v9 :: v_dual_mov_b32 v5, v10
	v_dual_mov_b32 v6, v11 :: v_dual_mov_b32 v7, v12
	scratch_load_b128 v[9:12], off, off offset:1192 ; 16-byte Folded Reload
	v_mul_f64 v[0:1], v[6:7], v[0:1]
	v_fma_f64 v[74:75], v[4:5], v[2:3], -v[0:1]
	ds_load_b128 v[0:3], v8 offset:20000
	s_waitcnt vmcnt(0) lgkmcnt(0)
	v_mul_f64 v[4:5], v[11:12], v[2:3]
	s_delay_alu instid0(VALU_DEP_1) | instskip(SKIP_1) | instid1(VALU_DEP_1)
	v_fma_f64 v[76:77], v[9:10], v[0:1], v[4:5]
	v_mul_f64 v[0:1], v[11:12], v[0:1]
	v_fma_f64 v[80:81], v[9:10], v[2:3], -v[0:1]
	scratch_load_b128 v[9:12], off, off offset:1128 ; 16-byte Folded Reload
	ds_load_b128 v[0:3], v8 offset:30000
	v_add_f64 v[106:107], v[80:81], -v[74:75]
	s_waitcnt vmcnt(0) lgkmcnt(0)
	v_mul_f64 v[4:5], v[11:12], v[2:3]
	s_delay_alu instid0(VALU_DEP_1) | instskip(SKIP_1) | instid1(VALU_DEP_2)
	v_fma_f64 v[82:83], v[9:10], v[0:1], v[4:5]
	v_mul_f64 v[0:1], v[11:12], v[0:1]
	v_add_f64 v[104:105], v[76:77], -v[82:83]
	s_delay_alu instid0(VALU_DEP_2)
	v_fma_f64 v[78:79], v[9:10], v[2:3], -v[0:1]
	scratch_load_b128 v[9:12], off, off offset:1112 ; 16-byte Folded Reload
	ds_load_b128 v[0:3], v8 offset:40000
	v_add_f64 v[100:101], v[80:81], -v[78:79]
	s_waitcnt vmcnt(0) lgkmcnt(0)
	v_mul_f64 v[4:5], v[11:12], v[2:3]
	s_delay_alu instid0(VALU_DEP_1) | instskip(SKIP_1) | instid1(VALU_DEP_2)
	v_fma_f64 v[84:85], v[9:10], v[0:1], v[4:5]
	v_mul_f64 v[0:1], v[11:12], v[0:1]
	v_add_f64 v[102:103], v[72:73], -v[84:85]
	s_delay_alu instid0(VALU_DEP_2)
	v_fma_f64 v[86:87], v[9:10], v[2:3], -v[0:1]
	scratch_load_b128 v[9:12], off, off offset:1388 ; 16-byte Folded Reload
	ds_load_b128 v[0:3], v8 offset:12000
	v_add_f64 v[98:99], v[74:75], -v[86:87]
	s_waitcnt vmcnt(0) lgkmcnt(0)
	v_mul_f64 v[4:5], v[11:12], v[2:3]
	s_delay_alu instid0(VALU_DEP_1) | instskip(SKIP_1) | instid1(VALU_DEP_1)
	v_fma_f64 v[16:17], v[9:10], v[0:1], v[4:5]
	v_mul_f64 v[0:1], v[11:12], v[0:1]
	v_fma_f64 v[18:19], v[9:10], v[2:3], -v[0:1]
	scratch_load_b128 v[9:12], off, off offset:1372 ; 16-byte Folded Reload
	ds_load_b128 v[0:3], v8 offset:22000
	s_waitcnt vmcnt(0) lgkmcnt(0)
	v_mul_f64 v[4:5], v[11:12], v[2:3]
	s_delay_alu instid0(VALU_DEP_1) | instskip(SKIP_1) | instid1(VALU_DEP_1)
	v_fma_f64 v[20:21], v[9:10], v[0:1], v[4:5]
	v_mul_f64 v[0:1], v[11:12], v[0:1]
	v_fma_f64 v[22:23], v[9:10], v[2:3], -v[0:1]
	scratch_load_b128 v[9:12], off, off offset:1356 ; 16-byte Folded Reload
	ds_load_b128 v[0:3], v8 offset:32000
	v_add_f64 v[110:111], v[22:23], -v[18:19]
	s_waitcnt vmcnt(0) lgkmcnt(0)
	v_mul_f64 v[4:5], v[11:12], v[2:3]
	s_delay_alu instid0(VALU_DEP_1) | instskip(SKIP_1) | instid1(VALU_DEP_2)
	v_fma_f64 v[26:27], v[9:10], v[0:1], v[4:5]
	v_mul_f64 v[0:1], v[11:12], v[0:1]
	v_add_f64 v[108:109], v[20:21], -v[26:27]
	s_delay_alu instid0(VALU_DEP_2) | instskip(SKIP_4) | instid1(VALU_DEP_1)
	v_fma_f64 v[24:25], v[9:10], v[2:3], -v[0:1]
	scratch_load_b128 v[9:12], off, off offset:1340 ; 16-byte Folded Reload
	ds_load_b128 v[0:3], v8 offset:42000
	s_waitcnt vmcnt(0) lgkmcnt(0)
	v_mul_f64 v[4:5], v[11:12], v[2:3]
	v_fma_f64 v[28:29], v[9:10], v[0:1], v[4:5]
	v_mul_f64 v[0:1], v[11:12], v[0:1]
	scratch_load_b128 v[12:15], off, off offset:1444 ; 16-byte Folded Reload
	v_fma_f64 v[30:31], v[9:10], v[2:3], -v[0:1]
	ds_load_b128 v[0:3], v8 offset:14000
	s_waitcnt vmcnt(0) lgkmcnt(0)
	v_mul_f64 v[4:5], v[14:15], v[2:3]
	s_delay_alu instid0(VALU_DEP_1) | instskip(SKIP_1) | instid1(VALU_DEP_1)
	v_fma_f64 v[10:11], v[12:13], v[0:1], v[4:5]
	v_mul_f64 v[0:1], v[14:15], v[0:1]
	v_fma_f64 v[88:89], v[12:13], v[2:3], -v[0:1]
	ds_load_b128 v[0:3], v8 offset:24000
	s_waitcnt lgkmcnt(0)
	v_mul_f64 v[4:5], v[34:35], v[2:3]
	s_delay_alu instid0(VALU_DEP_1) | instskip(SKIP_1) | instid1(VALU_DEP_2)
	v_fma_f64 v[12:13], v[32:33], v[0:1], v[4:5]
	v_mul_f64 v[0:1], v[34:35], v[0:1]
	v_add_f64 v[114:115], v[12:13], -v[10:11]
	s_delay_alu instid0(VALU_DEP_2) | instskip(SKIP_3) | instid1(VALU_DEP_1)
	v_fma_f64 v[14:15], v[32:33], v[2:3], -v[0:1]
	ds_load_b128 v[0:3], v8 offset:34000
	s_waitcnt lgkmcnt(0)
	v_mul_f64 v[4:5], v[38:39], v[2:3]
	v_fma_f64 v[34:35], v[36:37], v[0:1], v[4:5]
	v_dual_mov_b32 v4, v36 :: v_dual_mov_b32 v5, v37
	v_dual_mov_b32 v6, v38 :: v_dual_mov_b32 v7, v39
	scratch_load_b128 v[38:41], off, off offset:1208 ; 16-byte Folded Reload
	v_mul_f64 v[0:1], v[6:7], v[0:1]
	v_add_f64 v[112:113], v[12:13], -v[34:35]
	s_delay_alu instid0(VALU_DEP_2) | instskip(SKIP_3) | instid1(VALU_DEP_1)
	v_fma_f64 v[32:33], v[4:5], v[2:3], -v[0:1]
	ds_load_b128 v[0:3], v8 offset:44000
	s_waitcnt vmcnt(0) lgkmcnt(0)
	v_mul_f64 v[4:5], v[40:41], v[2:3]
	v_fma_f64 v[36:37], v[38:39], v[0:1], v[4:5]
	v_mul_f64 v[0:1], v[40:41], v[0:1]
	scratch_load_b128 v[40:43], off, off offset:1408 ; 16-byte Folded Reload
	v_fma_f64 v[38:39], v[38:39], v[2:3], -v[0:1]
	ds_load_b128 v[0:3], v8 offset:16000
	s_waitcnt vmcnt(0) lgkmcnt(0)
	v_mul_f64 v[4:5], v[42:43], v[2:3]
	s_delay_alu instid0(VALU_DEP_1) | instskip(SKIP_4) | instid1(VALU_DEP_1)
	v_fma_f64 v[46:47], v[40:41], v[0:1], v[4:5]
	v_dual_mov_b32 v4, v40 :: v_dual_mov_b32 v5, v41
	v_dual_mov_b32 v6, v42 :: v_dual_mov_b32 v7, v43
	scratch_load_b128 v[40:43], off, off offset:1048 ; 16-byte Folded Reload
	v_mul_f64 v[0:1], v[6:7], v[0:1]
	v_fma_f64 v[44:45], v[4:5], v[2:3], -v[0:1]
	ds_load_b128 v[0:3], v8 offset:26000
	s_waitcnt vmcnt(0) lgkmcnt(0)
	v_mul_f64 v[4:5], v[42:43], v[2:3]
	s_delay_alu instid0(VALU_DEP_1) | instskip(SKIP_1) | instid1(VALU_DEP_1)
	v_fma_f64 v[56:57], v[40:41], v[0:1], v[4:5]
	v_mul_f64 v[0:1], v[42:43], v[0:1]
	v_fma_f64 v[58:59], v[40:41], v[2:3], -v[0:1]
	scratch_load_b128 v[40:43], off, off offset:1032 ; 16-byte Folded Reload
	ds_load_b128 v[0:3], v8 offset:36000
	s_waitcnt vmcnt(0) lgkmcnt(0)
	v_mul_f64 v[4:5], v[42:43], v[2:3]
	s_delay_alu instid0(VALU_DEP_1) | instskip(SKIP_1) | instid1(VALU_DEP_2)
	v_fma_f64 v[64:65], v[40:41], v[0:1], v[4:5]
	v_mul_f64 v[0:1], v[42:43], v[0:1]
	v_add_f64 v[116:117], v[56:57], -v[64:65]
	s_delay_alu instid0(VALU_DEP_2) | instskip(SKIP_4) | instid1(VALU_DEP_1)
	v_fma_f64 v[66:67], v[40:41], v[2:3], -v[0:1]
	scratch_load_b128 v[40:43], off, off offset:1012 ; 16-byte Folded Reload
	ds_load_b128 v[0:3], v8 offset:46000
	s_waitcnt vmcnt(0) lgkmcnt(0)
	v_mul_f64 v[4:5], v[42:43], v[2:3]
	v_fma_f64 v[68:69], v[40:41], v[0:1], v[4:5]
	v_mul_f64 v[0:1], v[42:43], v[0:1]
	s_delay_alu instid0(VALU_DEP_1) | instskip(SKIP_3) | instid1(VALU_DEP_1)
	v_fma_f64 v[70:71], v[40:41], v[2:3], -v[0:1]
	ds_load_b128 v[0:3], v8 offset:18000
	s_waitcnt lgkmcnt(0)
	v_mul_f64 v[4:5], v[50:51], v[2:3]
	v_fma_f64 v[42:43], v[48:49], v[0:1], v[4:5]
	v_mul_f64 v[0:1], v[50:51], v[0:1]
	scratch_load_b128 v[50:53], off, off offset:1228 ; 16-byte Folded Reload
	v_fma_f64 v[40:41], v[48:49], v[2:3], -v[0:1]
	ds_load_b128 v[0:3], v8 offset:28000
	s_waitcnt vmcnt(0) lgkmcnt(0)
	v_mul_f64 v[4:5], v[52:53], v[2:3]
	s_delay_alu instid0(VALU_DEP_1) | instskip(SKIP_3) | instid1(VALU_DEP_2)
	v_fma_f64 v[48:49], v[50:51], v[0:1], v[4:5]
	v_mov_b32_e32 v4, v50
	v_dual_mov_b32 v6, v52 :: v_dual_mov_b32 v7, v53
	v_mov_b32_e32 v5, v51
	v_mul_f64 v[0:1], v[6:7], v[0:1]
	v_add_f64 v[122:123], v[42:43], -v[48:49]
	s_delay_alu instid0(VALU_DEP_2) | instskip(SKIP_3) | instid1(VALU_DEP_1)
	v_fma_f64 v[50:51], v[4:5], v[2:3], -v[0:1]
	ds_load_b128 v[0:3], v8 offset:38000
	s_waitcnt lgkmcnt(0)
	v_mul_f64 v[4:5], v[62:63], v[2:3]
	v_fma_f64 v[54:55], v[60:61], v[0:1], v[4:5]
	v_mul_f64 v[0:1], v[62:63], v[0:1]
	s_delay_alu instid0(VALU_DEP_2) | instskip(NEXT) | instid1(VALU_DEP_2)
	v_add_f64 v[118:119], v[48:49], -v[54:55]
	v_fma_f64 v[52:53], v[60:61], v[2:3], -v[0:1]
	ds_load_b128 v[0:3], v8 offset:48000
	s_waitcnt lgkmcnt(0)
	v_mul_f64 v[4:5], v[92:93], v[2:3]
	s_delay_alu instid0(VALU_DEP_1) | instskip(SKIP_1) | instid1(VALU_DEP_2)
	v_fma_f64 v[60:61], v[90:91], v[0:1], v[4:5]
	v_mul_f64 v[0:1], v[92:93], v[0:1]
	v_add_f64 v[120:121], v[42:43], -v[60:61]
	s_delay_alu instid0(VALU_DEP_2)
	v_fma_f64 v[62:63], v[90:91], v[2:3], -v[0:1]
	v_add_f64 v[0:1], v[72:73], -v[76:77]
	v_add_f64 v[2:3], v[84:85], -v[82:83]
	ds_load_b128 v[90:93], v8
	v_add_f64 v[4:5], v[0:1], v[2:3]
	v_add_f64 v[0:1], v[74:75], -v[80:81]
	v_add_f64 v[2:3], v[86:87], -v[78:79]
	s_delay_alu instid0(VALU_DEP_1) | instskip(SKIP_2) | instid1(VALU_DEP_1)
	v_add_f64 v[6:7], v[0:1], v[2:3]
	v_add_f64 v[0:1], v[76:77], v[82:83]
	s_waitcnt lgkmcnt(0)
	v_fma_f64 v[94:95], v[0:1], -0.5, v[90:91]
	v_add_f64 v[0:1], v[80:81], v[78:79]
	s_delay_alu instid0(VALU_DEP_1) | instskip(NEXT) | instid1(VALU_DEP_3)
	v_fma_f64 v[96:97], v[0:1], -0.5, v[92:93]
	v_fma_f64 v[0:1], v[98:99], s[16:17], v[94:95]
	v_fma_f64 v[94:95], v[98:99], s[14:15], v[94:95]
	s_delay_alu instid0(VALU_DEP_3) | instskip(SKIP_1) | instid1(VALU_DEP_4)
	v_fma_f64 v[2:3], v[102:103], s[14:15], v[96:97]
	v_fma_f64 v[96:97], v[102:103], s[16:17], v[96:97]
	;; [unrolled: 1-line block ×3, first 2 shown]
	s_delay_alu instid0(VALU_DEP_4) | instskip(NEXT) | instid1(VALU_DEP_4)
	v_fma_f64 v[94:95], v[100:101], s[2:3], v[94:95]
	v_fma_f64 v[2:3], v[104:105], s[2:3], v[2:3]
	s_delay_alu instid0(VALU_DEP_4) | instskip(NEXT) | instid1(VALU_DEP_4)
	v_fma_f64 v[96:97], v[104:105], s[8:9], v[96:97]
	v_fma_f64 v[0:1], v[4:5], s[12:13], v[0:1]
	s_delay_alu instid0(VALU_DEP_4) | instskip(SKIP_4) | instid1(VALU_DEP_4)
	v_fma_f64 v[4:5], v[4:5], s[12:13], v[94:95]
	v_add_f64 v[94:95], v[72:73], v[84:85]
	v_fma_f64 v[2:3], v[6:7], s[12:13], v[2:3]
	v_fma_f64 v[6:7], v[6:7], s[12:13], v[96:97]
	v_add_f64 v[96:97], v[74:75], v[86:87]
	v_fma_f64 v[94:95], v[94:95], -0.5, v[90:91]
	v_add_f64 v[90:91], v[90:91], v[72:73]
	s_delay_alu instid0(VALU_DEP_3) | instskip(SKIP_1) | instid1(VALU_DEP_1)
	v_fma_f64 v[96:97], v[96:97], -0.5, v[92:93]
	v_add_f64 v[92:93], v[92:93], v[74:75]
	v_add_f64 v[74:75], v[92:93], v[80:81]
	s_delay_alu instid0(VALU_DEP_4) | instskip(SKIP_2) | instid1(VALU_DEP_4)
	v_add_f64 v[80:81], v[90:91], v[76:77]
	v_add_f64 v[76:77], v[76:77], -v[72:73]
	v_fma_f64 v[90:91], v[104:105], s[14:15], v[96:97]
	v_add_f64 v[74:75], v[74:75], v[78:79]
	s_delay_alu instid0(VALU_DEP_4)
	v_add_f64 v[72:73], v[80:81], v[82:83]
	v_add_f64 v[80:81], v[82:83], -v[84:85]
	v_add_f64 v[78:79], v[78:79], -v[86:87]
	v_fma_f64 v[82:83], v[100:101], s[14:15], v[94:95]
	v_add_f64 v[74:75], v[74:75], v[86:87]
	v_add_f64 v[72:73], v[72:73], v[84:85]
	v_fma_f64 v[84:85], v[100:101], s[16:17], v[94:95]
	v_fma_f64 v[86:87], v[104:105], s[16:17], v[96:97]
	v_add_f64 v[80:81], v[76:77], v[80:81]
	v_add_f64 v[92:93], v[106:107], v[78:79]
	v_fma_f64 v[76:77], v[98:99], s[8:9], v[82:83]
	v_add_f64 v[106:107], v[16:17], -v[28:29]
	v_add_f64 v[104:105], v[22:23], -v[24:25]
	v_fma_f64 v[82:83], v[98:99], s[2:3], v[84:85]
	v_fma_f64 v[84:85], v[102:103], s[8:9], v[90:91]
	;; [unrolled: 1-line block ×3, first 2 shown]
	v_add_f64 v[86:87], v[28:29], -v[26:27]
	v_fma_f64 v[76:77], v[80:81], s[12:13], v[76:77]
	v_add_f64 v[90:91], v[20:21], v[26:27]
	v_add_f64 v[102:103], v[18:19], -v[30:31]
	v_fma_f64 v[80:81], v[80:81], s[12:13], v[82:83]
	v_fma_f64 v[82:83], v[92:93], s[12:13], v[84:85]
	v_add_f64 v[84:85], v[16:17], -v[20:21]
	v_fma_f64 v[78:79], v[92:93], s[12:13], v[78:79]
	s_delay_alu instid0(VALU_DEP_2) | instskip(SKIP_2) | instid1(VALU_DEP_1)
	v_add_f64 v[94:95], v[84:85], v[86:87]
	v_add_f64 v[84:85], v[18:19], -v[22:23]
	v_add_f64 v[86:87], v[30:31], -v[24:25]
	v_add_f64 v[96:97], v[84:85], v[86:87]
	ds_load_b128 v[84:87], v8 offset:2000
	s_waitcnt lgkmcnt(0)
	v_fma_f64 v[98:99], v[90:91], -0.5, v[84:85]
	v_add_f64 v[90:91], v[22:23], v[24:25]
	s_delay_alu instid0(VALU_DEP_1) | instskip(NEXT) | instid1(VALU_DEP_3)
	v_fma_f64 v[100:101], v[90:91], -0.5, v[86:87]
	v_fma_f64 v[90:91], v[102:103], s[16:17], v[98:99]
	v_fma_f64 v[98:99], v[102:103], s[14:15], v[98:99]
	s_delay_alu instid0(VALU_DEP_3) | instskip(SKIP_1) | instid1(VALU_DEP_4)
	v_fma_f64 v[92:93], v[106:107], s[14:15], v[100:101]
	v_fma_f64 v[100:101], v[106:107], s[16:17], v[100:101]
	;; [unrolled: 1-line block ×3, first 2 shown]
	s_delay_alu instid0(VALU_DEP_4) | instskip(NEXT) | instid1(VALU_DEP_4)
	v_fma_f64 v[98:99], v[104:105], s[2:3], v[98:99]
	v_fma_f64 v[92:93], v[108:109], s[2:3], v[92:93]
	s_delay_alu instid0(VALU_DEP_4) | instskip(NEXT) | instid1(VALU_DEP_4)
	v_fma_f64 v[100:101], v[108:109], s[8:9], v[100:101]
	v_fma_f64 v[90:91], v[94:95], s[12:13], v[90:91]
	s_delay_alu instid0(VALU_DEP_4) | instskip(SKIP_4) | instid1(VALU_DEP_4)
	v_fma_f64 v[94:95], v[94:95], s[12:13], v[98:99]
	v_add_f64 v[98:99], v[16:17], v[28:29]
	v_fma_f64 v[92:93], v[96:97], s[12:13], v[92:93]
	v_fma_f64 v[96:97], v[96:97], s[12:13], v[100:101]
	v_add_f64 v[100:101], v[18:19], v[30:31]
	v_fma_f64 v[98:99], v[98:99], -0.5, v[84:85]
	v_add_f64 v[84:85], v[84:85], v[16:17]
	s_delay_alu instid0(VALU_DEP_3) | instskip(SKIP_1) | instid1(VALU_DEP_1)
	v_fma_f64 v[100:101], v[100:101], -0.5, v[86:87]
	v_add_f64 v[86:87], v[86:87], v[18:19]
	v_add_f64 v[18:19], v[86:87], v[22:23]
	s_delay_alu instid0(VALU_DEP_4) | instskip(SKIP_2) | instid1(VALU_DEP_4)
	v_add_f64 v[22:23], v[84:85], v[20:21]
	v_add_f64 v[20:21], v[20:21], -v[16:17]
	v_fma_f64 v[84:85], v[108:109], s[14:15], v[100:101]
	v_add_f64 v[18:19], v[18:19], v[24:25]
	s_delay_alu instid0(VALU_DEP_4)
	v_add_f64 v[16:17], v[22:23], v[26:27]
	v_add_f64 v[22:23], v[26:27], -v[28:29]
	v_add_f64 v[24:25], v[24:25], -v[30:31]
	v_fma_f64 v[26:27], v[104:105], s[14:15], v[98:99]
	v_add_f64 v[18:19], v[18:19], v[30:31]
	v_add_f64 v[16:17], v[16:17], v[28:29]
	v_fma_f64 v[28:29], v[104:105], s[16:17], v[98:99]
	v_fma_f64 v[30:31], v[108:109], s[16:17], v[100:101]
	v_add_f64 v[86:87], v[20:21], v[22:23]
	v_add_f64 v[98:99], v[110:111], v[24:25]
	v_fma_f64 v[20:21], v[102:103], s[8:9], v[26:27]
	v_fma_f64 v[26:27], v[106:107], s[8:9], v[84:85]
	v_add_f64 v[84:85], v[12:13], v[34:35]
	v_add_f64 v[110:111], v[10:11], -v[36:37]
	v_add_f64 v[108:109], v[14:15], -v[32:33]
	v_fma_f64 v[24:25], v[102:103], s[2:3], v[28:29]
	v_fma_f64 v[22:23], v[106:107], s[2:3], v[30:31]
	v_add_f64 v[28:29], v[10:11], -v[12:13]
	v_add_f64 v[30:31], v[36:37], -v[34:35]
	v_add_f64 v[106:107], v[88:89], -v[38:39]
	v_fma_f64 v[26:27], v[98:99], s[12:13], v[26:27]
	v_fma_f64 v[20:21], v[86:87], s[12:13], v[20:21]
	;; [unrolled: 1-line block ×4, first 2 shown]
	v_add_f64 v[98:99], v[28:29], v[30:31]
	v_add_f64 v[28:29], v[88:89], -v[14:15]
	v_add_f64 v[30:31], v[38:39], -v[32:33]
	s_delay_alu instid0(VALU_DEP_1) | instskip(SKIP_4) | instid1(VALU_DEP_1)
	v_add_f64 v[100:101], v[28:29], v[30:31]
	ds_load_b128 v[28:31], v8 offset:4000
	s_waitcnt lgkmcnt(0)
	v_fma_f64 v[102:103], v[84:85], -0.5, v[28:29]
	v_add_f64 v[84:85], v[14:15], v[32:33]
	v_fma_f64 v[104:105], v[84:85], -0.5, v[30:31]
	s_delay_alu instid0(VALU_DEP_3) | instskip(SKIP_1) | instid1(VALU_DEP_3)
	v_fma_f64 v[84:85], v[106:107], s[16:17], v[102:103]
	v_fma_f64 v[102:103], v[106:107], s[14:15], v[102:103]
	;; [unrolled: 1-line block ×4, first 2 shown]
	s_delay_alu instid0(VALU_DEP_4) | instskip(NEXT) | instid1(VALU_DEP_4)
	v_fma_f64 v[84:85], v[108:109], s[8:9], v[84:85]
	v_fma_f64 v[102:103], v[108:109], s[2:3], v[102:103]
	s_delay_alu instid0(VALU_DEP_4) | instskip(NEXT) | instid1(VALU_DEP_4)
	v_fma_f64 v[86:87], v[112:113], s[2:3], v[86:87]
	v_fma_f64 v[104:105], v[112:113], s[8:9], v[104:105]
	;; [unrolled: 3-line block ×3, first 2 shown]
	v_add_f64 v[102:103], v[10:11], v[36:37]
	v_fma_f64 v[86:87], v[100:101], s[12:13], v[86:87]
	v_fma_f64 v[100:101], v[100:101], s[12:13], v[104:105]
	v_add_f64 v[104:105], v[88:89], v[38:39]
	s_delay_alu instid0(VALU_DEP_4) | instskip(SKIP_1) | instid1(VALU_DEP_3)
	v_fma_f64 v[102:103], v[102:103], -0.5, v[28:29]
	v_add_f64 v[28:29], v[28:29], v[10:11]
	v_fma_f64 v[104:105], v[104:105], -0.5, v[30:31]
	v_add_f64 v[30:31], v[30:31], v[88:89]
	s_delay_alu instid0(VALU_DEP_3) | instskip(SKIP_1) | instid1(VALU_DEP_3)
	v_add_f64 v[9:10], v[28:29], v[12:13]
	v_add_f64 v[28:29], v[34:35], -v[36:37]
	v_add_f64 v[11:12], v[30:31], v[14:15]
	v_add_f64 v[13:14], v[14:15], -v[88:89]
	s_delay_alu instid0(VALU_DEP_4)
	v_add_f64 v[9:10], v[9:10], v[34:35]
	v_add_f64 v[30:31], v[32:33], -v[38:39]
	v_fma_f64 v[34:35], v[108:109], s[16:17], v[102:103]
	v_add_f64 v[88:89], v[114:115], v[28:29]
	v_add_f64 v[114:115], v[46:47], -v[68:69]
	v_add_f64 v[11:12], v[11:12], v[32:33]
	v_fma_f64 v[32:33], v[108:109], s[14:15], v[102:103]
	v_add_f64 v[9:10], v[9:10], v[36:37]
	v_fma_f64 v[36:37], v[112:113], s[16:17], v[104:105]
	v_add_f64 v[13:14], v[13:14], v[30:31]
	v_add_f64 v[102:103], v[56:57], v[64:65]
	;; [unrolled: 1-line block ×3, first 2 shown]
	v_fma_f64 v[38:39], v[112:113], s[14:15], v[104:105]
	v_fma_f64 v[28:29], v[106:107], s[8:9], v[32:33]
	;; [unrolled: 1-line block ×4, first 2 shown]
	v_add_f64 v[36:37], v[68:69], -v[64:65]
	v_add_f64 v[112:113], v[58:59], -v[66:67]
	v_fma_f64 v[34:35], v[110:111], s[8:9], v[38:39]
	v_add_f64 v[38:39], v[70:71], -v[66:67]
	v_fma_f64 v[28:29], v[88:89], s[12:13], v[28:29]
	v_fma_f64 v[30:31], v[13:14], s[12:13], v[30:31]
	;; [unrolled: 1-line block ×3, first 2 shown]
	v_add_f64 v[110:111], v[44:45], -v[70:71]
	v_fma_f64 v[34:35], v[13:14], s[12:13], v[34:35]
	v_add_f64 v[13:14], v[46:47], -v[56:57]
	s_delay_alu instid0(VALU_DEP_1) | instskip(SKIP_1) | instid1(VALU_DEP_1)
	v_add_f64 v[13:14], v[13:14], v[36:37]
	v_add_f64 v[36:37], v[44:45], -v[58:59]
	v_add_f64 v[88:89], v[36:37], v[38:39]
	ds_load_b128 v[36:39], v8 offset:6000
	s_waitcnt lgkmcnt(0)
	v_fma_f64 v[106:107], v[102:103], -0.5, v[36:37]
	v_add_f64 v[102:103], v[58:59], v[66:67]
	s_delay_alu instid0(VALU_DEP_1) | instskip(NEXT) | instid1(VALU_DEP_3)
	v_fma_f64 v[108:109], v[102:103], -0.5, v[38:39]
	v_fma_f64 v[102:103], v[110:111], s[16:17], v[106:107]
	v_fma_f64 v[106:107], v[110:111], s[14:15], v[106:107]
	s_delay_alu instid0(VALU_DEP_3) | instskip(NEXT) | instid1(VALU_DEP_3)
	v_fma_f64 v[104:105], v[114:115], s[14:15], v[108:109]
	v_fma_f64 v[102:103], v[112:113], s[8:9], v[102:103]
	;; [unrolled: 1-line block ×3, first 2 shown]
	s_delay_alu instid0(VALU_DEP_4) | instskip(NEXT) | instid1(VALU_DEP_4)
	v_fma_f64 v[106:107], v[112:113], s[2:3], v[106:107]
	v_fma_f64 v[104:105], v[116:117], s[2:3], v[104:105]
	s_delay_alu instid0(VALU_DEP_4) | instskip(NEXT) | instid1(VALU_DEP_4)
	v_fma_f64 v[102:103], v[13:14], s[12:13], v[102:103]
	v_fma_f64 v[108:109], v[116:117], s[8:9], v[108:109]
	s_delay_alu instid0(VALU_DEP_4) | instskip(SKIP_2) | instid1(VALU_DEP_4)
	v_fma_f64 v[106:107], v[13:14], s[12:13], v[106:107]
	v_add_f64 v[13:14], v[46:47], v[68:69]
	v_fma_f64 v[104:105], v[88:89], s[12:13], v[104:105]
	v_fma_f64 v[108:109], v[88:89], s[12:13], v[108:109]
	v_add_f64 v[88:89], v[44:45], v[70:71]
	s_delay_alu instid0(VALU_DEP_4) | instskip(SKIP_2) | instid1(VALU_DEP_4)
	v_fma_f64 v[13:14], v[13:14], -0.5, v[36:37]
	v_add_f64 v[36:37], v[36:37], v[46:47]
	v_add_f64 v[46:47], v[56:57], -v[46:47]
	v_fma_f64 v[88:89], v[88:89], -0.5, v[38:39]
	v_add_f64 v[38:39], v[38:39], v[44:45]
	s_delay_alu instid0(VALU_DEP_4) | instskip(SKIP_2) | instid1(VALU_DEP_4)
	v_add_f64 v[36:37], v[36:37], v[56:57]
	v_add_f64 v[44:45], v[58:59], -v[44:45]
	v_add_f64 v[56:57], v[64:65], -v[68:69]
	v_add_f64 v[38:39], v[38:39], v[58:59]
	s_delay_alu instid0(VALU_DEP_4)
	v_add_f64 v[36:37], v[36:37], v[64:65]
	v_add_f64 v[58:59], v[66:67], -v[70:71]
	v_fma_f64 v[64:65], v[112:113], s[14:15], v[13:14]
	v_fma_f64 v[13:14], v[112:113], s[16:17], v[13:14]
	v_add_f64 v[56:57], v[46:47], v[56:57]
	v_add_f64 v[38:39], v[38:39], v[66:67]
	;; [unrolled: 1-line block ×3, first 2 shown]
	v_fma_f64 v[66:67], v[116:117], s[16:17], v[88:89]
	v_fma_f64 v[68:69], v[116:117], s[14:15], v[88:89]
	v_add_f64 v[58:59], v[44:45], v[58:59]
	v_fma_f64 v[44:45], v[110:111], s[8:9], v[64:65]
	v_fma_f64 v[13:14], v[110:111], s[2:3], v[13:14]
	v_add_f64 v[116:117], v[40:41], -v[62:63]
	v_add_f64 v[38:39], v[38:39], v[70:71]
	v_fma_f64 v[46:47], v[114:115], s[2:3], v[66:67]
	v_fma_f64 v[64:65], v[114:115], s[8:9], v[68:69]
	v_add_f64 v[66:67], v[52:53], -v[62:63]
	v_fma_f64 v[44:45], v[56:57], s[12:13], v[44:45]
	v_fma_f64 v[56:57], v[56:57], s[12:13], v[13:14]
	v_add_f64 v[13:14], v[48:49], -v[42:43]
	v_add_f64 v[68:69], v[42:43], v[60:61]
	v_add_f64 v[114:115], v[50:51], -v[52:53]
	v_fma_f64 v[46:47], v[58:59], s[12:13], v[46:47]
	v_fma_f64 v[58:59], v[58:59], s[12:13], v[64:65]
	v_add_f64 v[64:65], v[54:55], -v[60:61]
	s_delay_alu instid0(VALU_DEP_1) | instskip(SKIP_1) | instid1(VALU_DEP_1)
	v_add_f64 v[13:14], v[13:14], v[64:65]
	v_add_f64 v[64:65], v[50:51], -v[40:41]
	v_add_f64 v[88:89], v[64:65], v[66:67]
	ds_load_b128 v[64:67], v8 offset:8000
	s_waitcnt lgkmcnt(0)
	v_fma_f64 v[110:111], v[68:69], -0.5, v[64:65]
	v_add_f64 v[68:69], v[40:41], v[62:63]
	s_delay_alu instid0(VALU_DEP_1) | instskip(NEXT) | instid1(VALU_DEP_3)
	v_fma_f64 v[112:113], v[68:69], -0.5, v[66:67]
	v_fma_f64 v[68:69], v[114:115], s[14:15], v[110:111]
	v_fma_f64 v[110:111], v[114:115], s[16:17], v[110:111]
	s_delay_alu instid0(VALU_DEP_3) | instskip(SKIP_1) | instid1(VALU_DEP_4)
	v_fma_f64 v[70:71], v[118:119], s[16:17], v[112:113]
	v_fma_f64 v[112:113], v[118:119], s[14:15], v[112:113]
	;; [unrolled: 1-line block ×3, first 2 shown]
	s_delay_alu instid0(VALU_DEP_4) | instskip(NEXT) | instid1(VALU_DEP_4)
	v_fma_f64 v[110:111], v[116:117], s[2:3], v[110:111]
	v_fma_f64 v[70:71], v[120:121], s[2:3], v[70:71]
	s_delay_alu instid0(VALU_DEP_4) | instskip(NEXT) | instid1(VALU_DEP_4)
	v_fma_f64 v[112:113], v[120:121], s[8:9], v[112:113]
	v_fma_f64 v[68:69], v[13:14], s[12:13], v[68:69]
	s_delay_alu instid0(VALU_DEP_4) | instskip(SKIP_4) | instid1(VALU_DEP_4)
	v_fma_f64 v[110:111], v[13:14], s[12:13], v[110:111]
	v_add_f64 v[13:14], v[48:49], v[54:55]
	v_fma_f64 v[70:71], v[88:89], s[12:13], v[70:71]
	v_fma_f64 v[112:113], v[88:89], s[12:13], v[112:113]
	v_add_f64 v[88:89], v[50:51], v[52:53]
	v_fma_f64 v[13:14], v[13:14], -0.5, v[64:65]
	v_add_f64 v[64:65], v[64:65], v[42:43]
	s_delay_alu instid0(VALU_DEP_3) | instskip(SKIP_1) | instid1(VALU_DEP_3)
	v_fma_f64 v[88:89], v[88:89], -0.5, v[66:67]
	v_add_f64 v[66:67], v[66:67], v[40:41]
	v_add_f64 v[42:43], v[64:65], v[48:49]
	s_delay_alu instid0(VALU_DEP_2) | instskip(SKIP_1) | instid1(VALU_DEP_3)
	v_add_f64 v[48:49], v[66:67], v[50:51]
	v_add_f64 v[50:51], v[40:41], -v[50:51]
	v_add_f64 v[40:41], v[42:43], v[54:55]
	s_delay_alu instid0(VALU_DEP_3) | instskip(SKIP_1) | instid1(VALU_DEP_3)
	v_add_f64 v[42:43], v[48:49], v[52:53]
	v_add_f64 v[48:49], v[60:61], -v[54:55]
	v_add_f64 v[40:41], v[40:41], v[60:61]
	v_add_f64 v[52:53], v[62:63], -v[52:53]
	v_fma_f64 v[54:55], v[116:117], s[16:17], v[13:14]
	v_fma_f64 v[60:61], v[120:121], s[14:15], v[88:89]
	;; [unrolled: 1-line block ×3, first 2 shown]
	v_add_f64 v[42:43], v[42:43], v[62:63]
	v_fma_f64 v[62:63], v[120:121], s[16:17], v[88:89]
	v_add_f64 v[64:65], v[122:123], v[48:49]
	v_add_f64 v[66:67], v[50:51], v[52:53]
	v_fma_f64 v[48:49], v[114:115], s[8:9], v[54:55]
	v_fma_f64 v[50:51], v[118:119], s[2:3], v[60:61]
	;; [unrolled: 1-line block ×3, first 2 shown]
	s_load_b64 s[2:3], s[0:1], 0x38
	s_mov_b32 s0, 0x88e368f1
	s_mov_b32 s1, 0x3f34f8b5
	v_fma_f64 v[54:55], v[118:119], s[8:9], v[62:63]
	s_delay_alu instid0(VALU_DEP_4) | instskip(NEXT) | instid1(VALU_DEP_4)
	v_fma_f64 v[48:49], v[64:65], s[12:13], v[48:49]
	v_fma_f64 v[50:51], v[66:67], s[12:13], v[50:51]
	s_delay_alu instid0(VALU_DEP_4) | instskip(NEXT) | instid1(VALU_DEP_4)
	v_fma_f64 v[52:53], v[64:65], s[12:13], v[13:14]
	v_fma_f64 v[54:55], v[66:67], s[12:13], v[54:55]
	ds_store_b128 v8, v[72:75]
	ds_store_b128 v8, v[16:19] offset:2000
	ds_store_b128 v8, v[0:3] offset:10000
	;; [unrolled: 1-line block ×24, first 2 shown]
	s_waitcnt lgkmcnt(0)
	s_barrier
	buffer_gl0_inv
	scratch_load_b128 v[9:12], off, off offset:392 ; 16-byte Folded Reload
	ds_load_b128 v[0:3], v8
	s_clause 0xb
	scratch_load_b128 v[15:18], off, off offset:296
	scratch_load_b128 v[47:50], off, off offset:280
	;; [unrolled: 1-line block ×12, first 2 shown]
	s_waitcnt vmcnt(12) lgkmcnt(0)
	v_mul_f64 v[4:5], v[11:12], v[2:3]
	s_delay_alu instid0(VALU_DEP_1)
	v_fma_f64 v[4:5], v[9:10], v[0:1], v[4:5]
	v_mul_f64 v[0:1], v[11:12], v[0:1]
	scratch_load_b128 v[11:14], off, off offset:376 ; 16-byte Folded Reload
	v_fma_f64 v[6:7], v[9:10], v[2:3], -v[0:1]
	ds_load_b128 v[0:3], v8 offset:10000
	s_waitcnt vmcnt(0) lgkmcnt(0)
	v_mul_f64 v[9:10], v[13:14], v[2:3]
	s_delay_alu instid0(VALU_DEP_1) | instskip(SKIP_1) | instid1(VALU_DEP_1)
	v_fma_f64 v[9:10], v[11:12], v[0:1], v[9:10]
	v_mul_f64 v[0:1], v[13:14], v[0:1]
	v_fma_f64 v[11:12], v[11:12], v[2:3], -v[0:1]
	ds_load_b128 v[0:3], v8 offset:20000
	s_waitcnt lgkmcnt(0)
	v_mul_f64 v[13:14], v[17:18], v[2:3]
	s_delay_alu instid0(VALU_DEP_1) | instskip(SKIP_1) | instid1(VALU_DEP_1)
	v_fma_f64 v[13:14], v[15:16], v[0:1], v[13:14]
	v_mul_f64 v[0:1], v[17:18], v[0:1]
	v_fma_f64 v[15:16], v[15:16], v[2:3], -v[0:1]
	ds_load_b128 v[0:3], v8 offset:30000
	s_waitcnt lgkmcnt(0)
	;; [unrolled: 7-line block ×11, first 2 shown]
	v_mul_f64 v[53:54], v[57:58], v[2:3]
	s_delay_alu instid0(VALU_DEP_1) | instskip(SKIP_1) | instid1(VALU_DEP_1)
	v_fma_f64 v[53:54], v[55:56], v[0:1], v[53:54]
	v_mul_f64 v[0:1], v[57:58], v[0:1]
	v_fma_f64 v[55:56], v[55:56], v[2:3], -v[0:1]
	scratch_load_b64 v[0:1], off, off       ; 8-byte Folded Reload
	s_waitcnt vmcnt(0)
	v_mov_b32_e32 v3, v0
	s_delay_alu instid0(VALU_DEP_1) | instskip(SKIP_1) | instid1(VALU_DEP_1)
	v_mad_u64_u32 v[57:58], null, s6, v3, 0
	s_mul_hi_u32 s6, s4, 0x2710
	v_mov_b32_e32 v0, v58
	s_delay_alu instid0(VALU_DEP_1) | instskip(SKIP_4) | instid1(VALU_DEP_1)
	v_mad_u64_u32 v[1:2], null, s7, v3, v[0:1]
	scratch_load_b32 v2, off, off offset:664 ; 4-byte Folded Reload
	v_mov_b32_e32 v58, v1
	s_waitcnt vmcnt(0)
	v_mad_u64_u32 v[59:60], null, s4, v2, 0
	v_mov_b32_e32 v0, v60
	s_delay_alu instid0(VALU_DEP_1)
	v_mad_u64_u32 v[60:61], null, s5, v2, v[0:1]
	v_mul_f64 v[0:1], v[4:5], s[0:1]
	v_mul_f64 v[2:3], v[6:7], s[0:1]
	v_lshlrev_b64 v[4:5], 4, v[57:58]
	v_mul_f64 v[6:7], v[11:12], s[0:1]
	v_mul_f64 v[11:12], v[15:16], s[0:1]
	v_lshlrev_b64 v[57:58], 4, v[59:60]
	s_delay_alu instid0(VALU_DEP_4) | instskip(SKIP_2) | instid1(VALU_DEP_3)
	v_add_co_u32 v59, vcc_lo, s2, v4
	v_add_co_ci_u32_e32 v60, vcc_lo, s3, v5, vcc_lo
	v_mul_f64 v[4:5], v[9:10], s[0:1]
	v_add_co_u32 v57, vcc_lo, v59, v57
	s_delay_alu instid0(VALU_DEP_3)
	v_add_co_ci_u32_e32 v58, vcc_lo, v60, v58, vcc_lo
	v_mul_f64 v[9:10], v[13:14], s[0:1]
	ds_load_b128 v[13:16], v8 offset:34000
	s_mul_i32 s2, s5, 0x2710
	s_mul_i32 s3, s4, 0x2710
	s_add_i32 s2, s6, s2
	v_add_co_u32 v59, vcc_lo, v57, s3
	v_add_co_ci_u32_e32 v60, vcc_lo, s2, v58, vcc_lo
	s_mul_hi_u32 s6, s4, 0xffff6b90
	s_mul_i32 s5, s5, 0xffff6b90
	s_sub_i32 s6, s6, s4
	s_mul_i32 s4, s4, 0xffff6b90
	s_add_i32 s6, s6, s5
	global_store_b128 v[57:58], v[0:3], off
	scratch_load_b128 v[0:3], off, off offset:184 ; 16-byte Folded Reload
	v_add_co_u32 v57, vcc_lo, v59, s3
	v_add_co_ci_u32_e32 v58, vcc_lo, s2, v60, vcc_lo
	global_store_b128 v[59:60], v[4:7], off
	ds_load_b128 v[4:7], v8 offset:44000
	global_store_b128 v[57:58], v[9:12], off
	v_add_co_u32 v57, vcc_lo, v57, s3
	v_add_co_ci_u32_e32 v58, vcc_lo, s2, v58, vcc_lo
	ds_load_b128 v[9:12], v8 offset:6000
	s_waitcnt vmcnt(0) lgkmcnt(2)
	v_mul_f64 v[61:62], v[2:3], v[15:16]
	v_mul_f64 v[63:64], v[2:3], v[13:14]
	v_dual_mov_b32 v66, v1 :: v_dual_mov_b32 v65, v0
	v_mul_f64 v[0:1], v[17:18], s[0:1]
	v_mul_f64 v[2:3], v[19:20], s[0:1]
	;; [unrolled: 1-line block ×11, first 2 shown]
	v_add_co_u32 v41, vcc_lo, v57, s3
	v_add_co_ci_u32_e32 v42, vcc_lo, s2, v58, vcc_lo
	v_mul_f64 v[31:32], v[35:36], s[0:1]
	v_mul_f64 v[35:36], v[39:40], s[0:1]
	;; [unrolled: 1-line block ×3, first 2 shown]
	v_fma_f64 v[59:60], v[65:66], v[13:14], v[61:62]
	v_fma_f64 v[61:62], v[65:66], v[15:16], -v[63:64]
	scratch_load_b128 v[13:16], off, off offset:136 ; 16-byte Folded Reload
	global_store_b128 v[57:58], v[0:3], off
	v_add_co_u32 v57, vcc_lo, v41, s4
	v_add_co_ci_u32_e32 v58, vcc_lo, s6, v42, vcc_lo
	global_store_b128 v[41:42], v[17:20], off
	scratch_load_b128 v[17:20], off, off offset:168 ; 16-byte Folded Reload
	ds_load_b128 v[0:3], v8 offset:26000
	global_store_b128 v[57:58], v[21:24], off
	v_add_co_u32 v21, vcc_lo, v57, s3
	v_add_co_ci_u32_e32 v22, vcc_lo, s2, v58, vcc_lo
	global_store_b128 v[21:22], v[25:28], off
	scratch_load_b128 v[23:26], off, off offset:152 ; 16-byte Folded Reload
	v_add_co_u32 v21, vcc_lo, v21, s3
	v_add_co_ci_u32_e32 v22, vcc_lo, s2, v22, vcc_lo
	s_delay_alu instid0(VALU_DEP_2)
	v_add_co_u32 v69, vcc_lo, v21, s3
	global_store_b128 v[21:22], v[29:32], off
	v_add_co_ci_u32_e32 v70, vcc_lo, s2, v22, vcc_lo
	s_waitcnt vmcnt(2)
	v_mov_b32_e32 v80, v14
	s_waitcnt lgkmcnt(2)
	v_mul_f64 v[43:44], v[15:16], v[6:7]
	v_mul_f64 v[63:64], v[15:16], v[4:5]
	v_mov_b32_e32 v79, v13
	ds_load_b128 v[13:16], v8 offset:16000
	s_waitcnt vmcnt(1) lgkmcnt(2)
	v_mul_f64 v[41:42], v[19:20], v[11:12]
	v_mul_f64 v[65:66], v[19:20], v[9:10]
	v_dual_mov_b32 v84, v18 :: v_dual_mov_b32 v83, v17
	ds_load_b128 v[17:20], v8 offset:36000
	s_waitcnt vmcnt(0)
	v_dual_mov_b32 v86, v24 :: v_dual_mov_b32 v85, v23
	s_waitcnt lgkmcnt(1)
	v_mul_f64 v[57:58], v[25:26], v[15:16]
	v_mul_f64 v[67:68], v[25:26], v[13:14]
	scratch_load_b128 v[23:26], off, off offset:104 ; 16-byte Folded Reload
	s_waitcnt lgkmcnt(0)
	v_mul_f64 v[75:76], v[95:96], v[19:20]
	v_fma_f64 v[77:78], v[79:80], v[4:5], v[43:44]
	v_fma_f64 v[63:64], v[79:80], v[6:7], -v[63:64]
	v_mul_f64 v[4:5], v[45:46], s[0:1]
	v_mul_f64 v[6:7], v[47:48], s[0:1]
	;; [unrolled: 1-line block ×4, first 2 shown]
	v_add_co_u32 v43, vcc_lo, v69, s3
	v_fma_f64 v[81:82], v[83:84], v[9:10], v[41:42]
	v_fma_f64 v[65:66], v[83:84], v[11:12], -v[65:66]
	v_add_co_ci_u32_e32 v44, vcc_lo, s2, v70, vcc_lo
	v_mul_f64 v[41:42], v[53:54], s[0:1]
	v_mul_f64 v[79:80], v[95:96], v[17:18]
	s_waitcnt vmcnt(0)
	v_mov_b32_e32 v88, v24
	v_mul_f64 v[71:72], v[25:26], v[2:3]
	v_mul_f64 v[73:74], v[25:26], v[0:1]
	v_mov_b32_e32 v87, v23
	ds_load_b128 v[21:24], v8 offset:46000
	ds_load_b128 v[9:12], v8 offset:8000
	;; [unrolled: 1-line block ×3, first 2 shown]
	scratch_load_b128 v[59:62], off, off offset:8 ; 16-byte Folded Reload
	global_store_b128 v[69:70], v[33:36], off
	global_store_b128 v[43:44], v[37:40], off
	v_mul_f64 v[37:38], v[49:50], s[0:1]
	v_fma_f64 v[49:50], v[85:86], v[13:14], v[57:58]
	v_fma_f64 v[57:58], v[85:86], v[15:16], -v[67:68]
	v_mul_f64 v[39:40], v[51:52], s[0:1]
	s_clause 0x1
	scratch_load_b128 v[89:92], off, off offset:24
	scratch_load_b128 v[95:98], off, off offset:56
	ds_load_b128 v[33:36], v8 offset:18000
	v_add_co_u32 v69, vcc_lo, v43, s4
	v_add_co_ci_u32_e32 v70, vcc_lo, s6, v44, vcc_lo
	v_mul_f64 v[43:44], v[55:56], s[0:1]
	ds_load_b128 v[29:32], v8 offset:38000
	ds_load_b128 v[13:16], v8 offset:48000
	global_store_b128 v[69:70], v[4:7], off
	v_add_co_u32 v6, vcc_lo, v69, s3
	v_add_co_ci_u32_e32 v7, vcc_lo, s2, v70, vcc_lo
	s_delay_alu instid0(VALU_DEP_2) | instskip(NEXT) | instid1(VALU_DEP_2)
	v_add_co_u32 v69, vcc_lo, v6, s3
	v_add_co_ci_u32_e32 v70, vcc_lo, s2, v7, vcc_lo
	global_store_b128 v[6:7], v[37:40], off
	v_add_co_u32 v6, vcc_lo, v69, s3
	v_add_co_ci_u32_e32 v7, vcc_lo, s2, v70, vcc_lo
	s_waitcnt vmcnt(2)
	v_mov_b32_e32 v86, v60
	s_waitcnt lgkmcnt(5)
	v_mul_f64 v[51:52], v[61:62], v[23:24]
	v_mul_f64 v[53:54], v[61:62], v[21:22]
	v_mov_b32_e32 v85, v59
	v_fma_f64 v[59:60], v[87:88], v[0:1], v[71:72]
	v_fma_f64 v[61:62], v[87:88], v[2:3], -v[73:74]
	scratch_load_b128 v[71:74], off, off offset:40 ; 16-byte Folded Reload
	s_waitcnt vmcnt(2) lgkmcnt(4)
	v_mul_f64 v[55:56], v[91:92], v[11:12]
	v_mul_f64 v[0:1], v[91:92], v[9:10]
	v_fma_f64 v[21:22], v[85:86], v[21:22], v[51:52]
	v_fma_f64 v[23:24], v[85:86], v[23:24], -v[53:54]
	s_delay_alu instid0(VALU_DEP_4) | instskip(NEXT) | instid1(VALU_DEP_4)
	v_fma_f64 v[37:38], v[89:90], v[9:10], v[55:56]
	v_fma_f64 v[39:40], v[89:90], v[11:12], -v[0:1]
	v_mul_f64 v[0:1], v[77:78], s[0:1]
	v_add_co_u32 v55, vcc_lo, v6, s3
	v_add_co_ci_u32_e32 v56, vcc_lo, s2, v7, vcc_lo
	v_mul_f64 v[8:9], v[49:50], s[0:1]
	v_mul_f64 v[10:11], v[57:58], s[0:1]
	s_waitcnt vmcnt(0) lgkmcnt(2)
	v_mul_f64 v[2:3], v[73:74], v[35:36]
	v_mul_f64 v[67:68], v[73:74], v[33:34]
	v_dual_mov_b32 v73, v93 :: v_dual_mov_b32 v74, v94
	v_mov_b32_e32 v88, v72
	scratch_load_b128 v[91:94], off, off offset:72 ; 16-byte Folded Reload
	v_mov_b32_e32 v87, v71
	v_mul_f64 v[71:72], v[97:98], v[27:28]
	v_fma_f64 v[17:18], v[73:74], v[17:18], v[75:76]
	v_fma_f64 v[19:20], v[73:74], v[19:20], -v[79:80]
	v_mul_f64 v[73:74], v[97:98], v[25:26]
	scratch_load_b128 v[97:100], off, off offset:88 ; 16-byte Folded Reload
	global_store_b128 v[69:70], v[41:44], off
	global_store_b128 v[6:7], v[45:48], off
	v_mul_f64 v[6:7], v[65:66], s[0:1]
	v_fma_f64 v[33:34], v[87:88], v[33:34], v[2:3]
	v_fma_f64 v[35:36], v[87:88], v[35:36], -v[67:68]
	v_mul_f64 v[2:3], v[63:64], s[0:1]
	v_add_co_u32 v63, vcc_lo, v55, s4
	v_add_co_ci_u32_e32 v64, vcc_lo, s6, v56, vcc_lo
	v_fma_f64 v[41:42], v[95:96], v[25:26], v[71:72]
	s_delay_alu instid0(VALU_DEP_3) | instskip(SKIP_1) | instid1(VALU_DEP_4)
	v_add_co_u32 v49, vcc_lo, v63, s3
	v_fma_f64 v[43:44], v[95:96], v[27:28], -v[73:74]
	v_add_co_ci_u32_e32 v50, vcc_lo, s2, v64, vcc_lo
	s_delay_alu instid0(VALU_DEP_3) | instskip(SKIP_1) | instid1(VALU_DEP_3)
	v_add_co_u32 v57, vcc_lo, v49, s3
	v_mul_f64 v[26:27], v[39:40], s[0:1]
	v_add_co_ci_u32_e32 v58, vcc_lo, s2, v50, vcc_lo
	global_store_b128 v[55:56], v[0:3], off
	s_waitcnt vmcnt(1) lgkmcnt(1)
	v_mul_f64 v[75:76], v[93:94], v[31:32]
	v_mul_f64 v[79:80], v[93:94], v[29:30]
	s_waitcnt vmcnt(0) lgkmcnt(0)
	v_mul_f64 v[83:84], v[99:100], v[15:16]
	v_mul_f64 v[4:5], v[99:100], v[13:14]
	s_delay_alu instid0(VALU_DEP_4) | instskip(NEXT) | instid1(VALU_DEP_4)
	v_fma_f64 v[45:46], v[91:92], v[29:30], v[75:76]
	v_fma_f64 v[47:48], v[91:92], v[31:32], -v[79:80]
	v_mul_f64 v[28:29], v[33:34], s[0:1]
	v_mul_f64 v[30:31], v[35:36], s[0:1]
	;; [unrolled: 1-line block ×4, first 2 shown]
	v_fma_f64 v[51:52], v[97:98], v[13:14], v[83:84]
	v_fma_f64 v[53:54], v[97:98], v[15:16], -v[4:5]
	v_mul_f64 v[4:5], v[81:82], s[0:1]
	v_mul_f64 v[12:13], v[59:60], s[0:1]
	;; [unrolled: 1-line block ×8, first 2 shown]
	v_add_co_u32 v44, vcc_lo, v57, s3
	v_mul_f64 v[36:37], v[45:46], s[0:1]
	v_mul_f64 v[38:39], v[47:48], s[0:1]
	v_add_co_ci_u32_e32 v45, vcc_lo, s2, v58, vcc_lo
	s_delay_alu instid0(VALU_DEP_4) | instskip(SKIP_2) | instid1(VALU_DEP_4)
	v_add_co_u32 v0, vcc_lo, v44, s3
	v_mul_f64 v[40:41], v[51:52], s[0:1]
	v_mul_f64 v[42:43], v[53:54], s[0:1]
	v_add_co_ci_u32_e32 v1, vcc_lo, s2, v45, vcc_lo
	s_delay_alu instid0(VALU_DEP_4)
	v_add_co_u32 v2, vcc_lo, v0, s4
	global_store_b128 v[63:64], v[4:7], off
	v_add_co_ci_u32_e32 v3, vcc_lo, s6, v1, vcc_lo
	v_add_co_u32 v4, vcc_lo, v2, s3
	global_store_b128 v[49:50], v[8:11], off
	v_add_co_ci_u32_e32 v5, vcc_lo, s2, v3, vcc_lo
	;; [unrolled: 3-line block ×4, first 2 shown]
	global_store_b128 v[0:1], v[20:23], off
	v_add_co_u32 v0, vcc_lo, v8, s3
	v_add_co_ci_u32_e32 v1, vcc_lo, s2, v9, vcc_lo
	global_store_b128 v[2:3], v[24:27], off
	global_store_b128 v[4:5], v[28:31], off
	;; [unrolled: 1-line block ×5, first 2 shown]
.LBB0_2:
	s_nop 0
	s_sendmsg sendmsg(MSG_DEALLOC_VGPRS)
	s_endpgm
	.section	.rodata,"a",@progbits
	.p2align	6, 0x0
	.amdhsa_kernel bluestein_single_fwd_len3125_dim1_dp_op_CI_CI
		.amdhsa_group_segment_fixed_size 50000
		.amdhsa_private_segment_fixed_size 1528
		.amdhsa_kernarg_size 104
		.amdhsa_user_sgpr_count 15
		.amdhsa_user_sgpr_dispatch_ptr 0
		.amdhsa_user_sgpr_queue_ptr 0
		.amdhsa_user_sgpr_kernarg_segment_ptr 1
		.amdhsa_user_sgpr_dispatch_id 0
		.amdhsa_user_sgpr_private_segment_size 0
		.amdhsa_wavefront_size32 1
		.amdhsa_uses_dynamic_stack 0
		.amdhsa_enable_private_segment 1
		.amdhsa_system_sgpr_workgroup_id_x 1
		.amdhsa_system_sgpr_workgroup_id_y 0
		.amdhsa_system_sgpr_workgroup_id_z 0
		.amdhsa_system_sgpr_workgroup_info 0
		.amdhsa_system_vgpr_workitem_id 0
		.amdhsa_next_free_vgpr 256
		.amdhsa_next_free_sgpr 20
		.amdhsa_reserve_vcc 1
		.amdhsa_float_round_mode_32 0
		.amdhsa_float_round_mode_16_64 0
		.amdhsa_float_denorm_mode_32 3
		.amdhsa_float_denorm_mode_16_64 3
		.amdhsa_dx10_clamp 1
		.amdhsa_ieee_mode 1
		.amdhsa_fp16_overflow 0
		.amdhsa_workgroup_processor_mode 1
		.amdhsa_memory_ordered 1
		.amdhsa_forward_progress 0
		.amdhsa_shared_vgpr_count 0
		.amdhsa_exception_fp_ieee_invalid_op 0
		.amdhsa_exception_fp_denorm_src 0
		.amdhsa_exception_fp_ieee_div_zero 0
		.amdhsa_exception_fp_ieee_overflow 0
		.amdhsa_exception_fp_ieee_underflow 0
		.amdhsa_exception_fp_ieee_inexact 0
		.amdhsa_exception_int_div_zero 0
	.end_amdhsa_kernel
	.text
.Lfunc_end0:
	.size	bluestein_single_fwd_len3125_dim1_dp_op_CI_CI, .Lfunc_end0-bluestein_single_fwd_len3125_dim1_dp_op_CI_CI
                                        ; -- End function
	.section	.AMDGPU.csdata,"",@progbits
; Kernel info:
; codeLenInByte = 46080
; NumSgprs: 22
; NumVgprs: 256
; ScratchSize: 1528
; MemoryBound: 0
; FloatMode: 240
; IeeeMode: 1
; LDSByteSize: 50000 bytes/workgroup (compile time only)
; SGPRBlocks: 2
; VGPRBlocks: 31
; NumSGPRsForWavesPerEU: 22
; NumVGPRsForWavesPerEU: 256
; Occupancy: 2
; WaveLimiterHint : 1
; COMPUTE_PGM_RSRC2:SCRATCH_EN: 1
; COMPUTE_PGM_RSRC2:USER_SGPR: 15
; COMPUTE_PGM_RSRC2:TRAP_HANDLER: 0
; COMPUTE_PGM_RSRC2:TGID_X_EN: 1
; COMPUTE_PGM_RSRC2:TGID_Y_EN: 0
; COMPUTE_PGM_RSRC2:TGID_Z_EN: 0
; COMPUTE_PGM_RSRC2:TIDIG_COMP_CNT: 0
	.text
	.p2alignl 7, 3214868480
	.fill 96, 4, 3214868480
	.type	__hip_cuid_63777ebac7f72e49,@object ; @__hip_cuid_63777ebac7f72e49
	.section	.bss,"aw",@nobits
	.globl	__hip_cuid_63777ebac7f72e49
__hip_cuid_63777ebac7f72e49:
	.byte	0                               ; 0x0
	.size	__hip_cuid_63777ebac7f72e49, 1

	.ident	"AMD clang version 19.0.0git (https://github.com/RadeonOpenCompute/llvm-project roc-6.4.0 25133 c7fe45cf4b819c5991fe208aaa96edf142730f1d)"
	.section	".note.GNU-stack","",@progbits
	.addrsig
	.addrsig_sym __hip_cuid_63777ebac7f72e49
	.amdgpu_metadata
---
amdhsa.kernels:
  - .args:
      - .actual_access:  read_only
        .address_space:  global
        .offset:         0
        .size:           8
        .value_kind:     global_buffer
      - .actual_access:  read_only
        .address_space:  global
        .offset:         8
        .size:           8
        .value_kind:     global_buffer
      - .actual_access:  read_only
        .address_space:  global
        .offset:         16
        .size:           8
        .value_kind:     global_buffer
      - .actual_access:  read_only
        .address_space:  global
        .offset:         24
        .size:           8
        .value_kind:     global_buffer
      - .actual_access:  read_only
        .address_space:  global
        .offset:         32
        .size:           8
        .value_kind:     global_buffer
      - .offset:         40
        .size:           8
        .value_kind:     by_value
      - .address_space:  global
        .offset:         48
        .size:           8
        .value_kind:     global_buffer
      - .address_space:  global
        .offset:         56
        .size:           8
        .value_kind:     global_buffer
      - .address_space:  global
        .offset:         64
        .size:           8
        .value_kind:     global_buffer
      - .address_space:  global
        .offset:         72
        .size:           8
        .value_kind:     global_buffer
      - .offset:         80
        .size:           4
        .value_kind:     by_value
      - .address_space:  global
        .offset:         88
        .size:           8
        .value_kind:     global_buffer
      - .address_space:  global
        .offset:         96
        .size:           8
        .value_kind:     global_buffer
    .group_segment_fixed_size: 50000
    .kernarg_segment_align: 8
    .kernarg_segment_size: 104
    .language:       OpenCL C
    .language_version:
      - 2
      - 0
    .max_flat_workgroup_size: 125
    .name:           bluestein_single_fwd_len3125_dim1_dp_op_CI_CI
    .private_segment_fixed_size: 1528
    .sgpr_count:     22
    .sgpr_spill_count: 0
    .symbol:         bluestein_single_fwd_len3125_dim1_dp_op_CI_CI.kd
    .uniform_work_group_size: 1
    .uses_dynamic_stack: false
    .vgpr_count:     256
    .vgpr_spill_count: 381
    .wavefront_size: 32
    .workgroup_processor_mode: 1
amdhsa.target:   amdgcn-amd-amdhsa--gfx1100
amdhsa.version:
  - 1
  - 2
...

	.end_amdgpu_metadata
